;; amdgpu-corpus repo=ROCm/rocFFT kind=compiled arch=gfx906 opt=O3
	.text
	.amdgcn_target "amdgcn-amd-amdhsa--gfx906"
	.amdhsa_code_object_version 6
	.protected	bluestein_single_fwd_len3375_dim1_half_op_CI_CI ; -- Begin function bluestein_single_fwd_len3375_dim1_half_op_CI_CI
	.globl	bluestein_single_fwd_len3375_dim1_half_op_CI_CI
	.p2align	8
	.type	bluestein_single_fwd_len3375_dim1_half_op_CI_CI,@function
bluestein_single_fwd_len3375_dim1_half_op_CI_CI: ; @bluestein_single_fwd_len3375_dim1_half_op_CI_CI
; %bb.0:
	s_load_dwordx4 s[16:19], s[4:5], 0x28
	v_mul_u32_u24_e32 v1, 0x124, v0
	v_add_u32_sdwa v24, s6, v1 dst_sel:DWORD dst_unused:UNUSED_PAD src0_sel:DWORD src1_sel:WORD_1
	v_mov_b32_e32 v25, 0
	s_waitcnt lgkmcnt(0)
	v_cmp_gt_u64_e32 vcc, s[16:17], v[24:25]
	s_and_saveexec_b64 s[0:1], vcc
	s_cbranch_execz .LBB0_2
; %bb.1:
	s_load_dwordx4 s[8:11], s[4:5], 0x18
	s_load_dwordx4 s[0:3], s[4:5], 0x0
	s_movk_i32 s16, 0xe1
	v_mul_lo_u16_sdwa v1, v1, s16 dst_sel:DWORD dst_unused:UNUSED_PAD src0_sel:WORD_1 src1_sel:DWORD
	v_sub_u16_e32 v75, v0, v1
	s_waitcnt lgkmcnt(0)
	s_load_dwordx4 s[12:15], s[8:9], 0x0
	v_lshlrev_b32_e32 v57, 2, v75
	global_load_dword v77, v57, s[0:1]
	s_movk_i32 s17, 0x2000
	v_mov_b32_e32 v60, 0xffffd954
	s_waitcnt lgkmcnt(0)
	v_mad_u64_u32 v[0:1], s[6:7], s14, v24, 0
	v_mad_u64_u32 v[2:3], s[6:7], s12, v75, 0
	s_movk_i32 s14, 0x1000
	v_add_u32_e32 v71, 0xe00, v57
	v_mad_u64_u32 v[4:5], s[6:7], s15, v24, v[1:2]
	s_mul_i32 s15, s12, 0xa8c
	v_add_u32_e32 v84, 0x1880, v57
	v_mad_u64_u32 v[5:6], s[6:7], s13, v75, v[3:4]
	v_mov_b32_e32 v1, v4
	v_lshlrev_b64 v[0:1], 2, v[0:1]
	v_mov_b32_e32 v6, s19
	v_mov_b32_e32 v3, v5
	v_add_co_u32_e32 v4, vcc, s18, v0
	v_addc_co_u32_e32 v5, vcc, v6, v1, vcc
	v_lshlrev_b64 v[0:1], 2, v[2:3]
	s_mul_i32 s6, s13, 0xa8c
	v_add_co_u32_e32 v0, vcc, v4, v0
	s_mul_hi_u32 s7, s12, 0xa8c
	v_addc_co_u32_e32 v1, vcc, v5, v1, vcc
	s_add_i32 s6, s7, s6
	global_load_dword v10, v[0:1], off
	v_mov_b32_e32 v2, s6
	v_add_co_u32_e32 v0, vcc, s15, v0
	v_addc_co_u32_e32 v1, vcc, v1, v2, vcc
	global_load_dword v11, v[0:1], off
	global_load_dword v74, v57, s[0:1] offset:2700
	v_add_co_u32_e32 v0, vcc, s15, v0
	v_addc_co_u32_e32 v1, vcc, v1, v2, vcc
	v_mov_b32_e32 v2, s1
	v_add_co_u32_e32 v81, vcc, s0, v57
	v_addc_co_u32_e32 v82, vcc, 0, v2, vcc
	v_add_co_u32_e32 v2, vcc, s14, v81
	global_load_dword v12, v[0:1], off
	v_addc_co_u32_e32 v3, vcc, 0, v82, vcc
	global_load_dword v72, v[2:3], off offset:1304
	v_add_co_u32_e32 v4, vcc, s17, v81
	v_addc_co_u32_e32 v5, vcc, 0, v82, vcc
	v_mov_b32_e32 v6, s6
	v_add_co_u32_e32 v0, vcc, s15, v0
	v_addc_co_u32_e32 v1, vcc, v1, v6, vcc
	v_mov_b32_e32 v7, s6
	v_add_co_u32_e32 v6, vcc, s15, v0
	s_load_dwordx4 s[8:11], s[10:11], 0x0
	global_load_dword v68, v57, s[0:1] offset:900
	global_load_dword v66, v57, s[0:1] offset:3600
	;; [unrolled: 1-line block ×3, first 2 shown]
	global_load_dword v73, v[2:3], off offset:4004
	global_load_dword v70, v[4:5], off offset:2608
	v_addc_co_u32_e32 v7, vcc, v1, v7, vcc
	global_load_dword v14, v[0:1], off
	global_load_dword v15, v[6:7], off
	s_mul_i32 s0, s13, 0xffffd954
	s_sub_i32 s13, s0, s12
	v_mad_u64_u32 v[8:9], s[0:1], s12, v60, v[6:7]
	v_mov_b32_e32 v13, s6
	v_mov_b32_e32 v17, s6
	v_add_u32_e32 v9, s13, v9
	v_add_co_u32_e32 v0, vcc, s15, v8
	global_load_dword v6, v[8:9], off
	v_addc_co_u32_e32 v1, vcc, v9, v13, vcc
	global_load_dword v7, v[0:1], off
	v_add_co_u32_e32 v0, vcc, s15, v0
	v_add_u32_e32 v69, 0x2300, v57
	v_add_u32_e32 v85, 0x2d80, v57
	;; [unrolled: 1-line block ×6, first 2 shown]
	s_mov_b32 s7, 0xffff
	v_mov_b32_e32 v55, s3
	s_movk_i32 s17, 0x7d
	s_movk_i32 s18, 0xff6a
	s_movk_i32 s20, 0x96
	s_load_dwordx2 s[4:5], s[4:5], 0x38
	s_waitcnt vmcnt(13)
	v_lshrrev_b32_e32 v8, 16, v10
	v_mul_f16_sdwa v9, v77, v10 dst_sel:DWORD dst_unused:UNUSED_PAD src0_sel:WORD_1 src1_sel:DWORD
	v_mul_f16_sdwa v13, v77, v8 dst_sel:DWORD dst_unused:UNUSED_PAD src0_sel:WORD_1 src1_sel:DWORD
	v_fma_f16 v8, v77, v8, -v9
	v_fma_f16 v10, v77, v10, v13
	s_waitcnt vmcnt(12)
	v_lshrrev_b32_e32 v9, 16, v11
	s_waitcnt vmcnt(11)
	v_mul_f16_sdwa v16, v74, v11 dst_sel:DWORD dst_unused:UNUSED_PAD src0_sel:WORD_1 src1_sel:DWORD
	v_mul_f16_sdwa v13, v74, v9 dst_sel:DWORD dst_unused:UNUSED_PAD src0_sel:WORD_1 src1_sel:DWORD
	v_fma_f16 v9, v74, v9, -v16
	v_pack_b32_f16 v8, v10, v8
	v_fma_f16 v10, v74, v11, v13
	v_pack_b32_f16 v9, v10, v9
	ds_write_b32 v57, v9 offset:2700
	v_mov_b32_e32 v9, s6
	v_addc_co_u32_e32 v1, vcc, v1, v9, vcc
	global_load_dword v9, v[0:1], off
	global_load_dword v67, v[2:3], off offset:2204
	v_mov_b32_e32 v10, s6
	v_add_co_u32_e32 v0, vcc, s15, v0
	v_addc_co_u32_e32 v1, vcc, v1, v10, vcc
	global_load_dword v10, v[0:1], off
	global_load_dword v65, v[4:5], off offset:808
	v_mov_b32_e32 v11, s6
	v_add_co_u32_e32 v0, vcc, s15, v0
	v_addc_co_u32_e32 v1, vcc, v1, v11, vcc
	global_load_dword v11, v[0:1], off
	global_load_dword v64, v[4:5], off offset:3508
	v_mad_u64_u32 v[0:1], s[0:1], s12, v60, v[0:1]
	s_waitcnt vmcnt(16)
	v_lshrrev_b32_e32 v16, 16, v12
	global_load_dword v61, v[2:3], off offset:3104
	global_load_dword v62, v[2:3], off offset:404
	s_waitcnt vmcnt(17)
	v_mul_f16_sdwa v2, v72, v16 dst_sel:DWORD dst_unused:UNUSED_PAD src0_sel:WORD_1 src1_sel:DWORD
	v_add_u32_e32 v1, s13, v1
	v_fma_f16 v2, v72, v12, v2
	v_mul_f16_sdwa v3, v72, v12 dst_sel:DWORD dst_unused:UNUSED_PAD src0_sel:WORD_1 src1_sel:DWORD
	global_load_dword v12, v[0:1], off
	v_mov_b32_e32 v13, s6
	v_add_co_u32_e32 v0, vcc, s15, v0
	v_addc_co_u32_e32 v1, vcc, v1, v13, vcc
	global_load_dword v13, v[0:1], off
	v_fma_f16 v3, v72, v16, -v3
	v_mov_b32_e32 v16, s6
	v_add_co_u32_e32 v0, vcc, s15, v0
	v_addc_co_u32_e32 v1, vcc, v1, v16, vcc
	global_load_dword v16, v[0:1], off
	v_add_co_u32_e32 v0, vcc, s15, v0
	v_addc_co_u32_e32 v1, vcc, v1, v17, vcc
	global_load_dword v17, v[0:1], off
	global_load_dword v59, v[4:5], off offset:1708
	v_mov_b32_e32 v4, s6
	v_add_co_u32_e32 v0, vcc, s15, v0
	v_addc_co_u32_e32 v1, vcc, v1, v4, vcc
	s_movk_i32 s0, 0x3000
	v_add_co_u32_e32 v25, vcc, s0, v81
	global_load_dword v0, v[0:1], off
	v_addc_co_u32_e32 v26, vcc, 0, v82, vcc
	global_load_dword v58, v[25:26], off offset:312
	v_pack_b32_f16 v1, v2, v3
	ds_write_b32 v57, v1 offset:5400
	s_waitcnt vmcnt(18)
	v_lshrrev_b32_e32 v1, 16, v14
	v_mul_f16_sdwa v2, v73, v1 dst_sel:DWORD dst_unused:UNUSED_PAD src0_sel:WORD_1 src1_sel:DWORD
	v_mul_f16_sdwa v3, v73, v14 dst_sel:DWORD dst_unused:UNUSED_PAD src0_sel:WORD_1 src1_sel:DWORD
	v_fma_f16 v2, v73, v14, v2
	v_fma_f16 v1, v73, v1, -v3
	v_pack_b32_f16 v1, v2, v1
	ds_write_b32 v57, v1 offset:8100
	s_waitcnt vmcnt(17)
	v_lshrrev_b32_e32 v1, 16, v15
	v_mul_f16_sdwa v2, v70, v1 dst_sel:DWORD dst_unused:UNUSED_PAD src0_sel:WORD_1 src1_sel:DWORD
	v_mul_f16_sdwa v3, v70, v15 dst_sel:DWORD dst_unused:UNUSED_PAD src0_sel:WORD_1 src1_sel:DWORD
	v_fma_f16 v2, v70, v15, v2
	v_fma_f16 v1, v70, v1, -v3
	;; [unrolled: 8-line block ×3, first 2 shown]
	v_pack_b32_f16 v1, v2, v1
	ds_write2_b32 v57, v8, v1 offset1:225
	s_waitcnt vmcnt(15)
	v_lshrrev_b32_e32 v1, 16, v7
	v_mul_f16_sdwa v2, v66, v1 dst_sel:DWORD dst_unused:UNUSED_PAD src0_sel:WORD_1 src1_sel:DWORD
	v_mul_f16_sdwa v3, v66, v7 dst_sel:DWORD dst_unused:UNUSED_PAD src0_sel:WORD_1 src1_sel:DWORD
	v_fma_f16 v2, v66, v7, v2
	v_fma_f16 v1, v66, v1, -v3
	v_pack_b32_f16 v1, v2, v1
	s_waitcnt vmcnt(14)
	v_lshrrev_b32_e32 v2, 16, v9
	s_waitcnt vmcnt(13)
	v_mul_f16_sdwa v3, v67, v2 dst_sel:DWORD dst_unused:UNUSED_PAD src0_sel:WORD_1 src1_sel:DWORD
	v_mul_f16_sdwa v4, v67, v9 dst_sel:DWORD dst_unused:UNUSED_PAD src0_sel:WORD_1 src1_sel:DWORD
	v_fma_f16 v3, v67, v9, v3
	v_fma_f16 v2, v67, v2, -v4
	v_pack_b32_f16 v2, v3, v2
	s_waitcnt vmcnt(12)
	v_lshrrev_b32_e32 v3, 16, v10
	s_waitcnt vmcnt(11)
	;; [unrolled: 8-line block ×3, first 2 shown]
	v_mul_f16_sdwa v5, v64, v4 dst_sel:DWORD dst_unused:UNUSED_PAD src0_sel:WORD_1 src1_sel:DWORD
	v_mul_f16_sdwa v6, v64, v11 dst_sel:DWORD dst_unused:UNUSED_PAD src0_sel:WORD_1 src1_sel:DWORD
	v_fma_f16 v5, v64, v11, v5
	v_fma_f16 v4, v64, v4, -v6
	v_pack_b32_f16 v4, v5, v4
	s_movk_i32 s0, 0x3b9c
	s_movk_i32 s1, 0x38b4
	s_waitcnt vmcnt(6)
	v_lshrrev_b32_e32 v5, 16, v12
	v_mul_f16_sdwa v6, v63, v5 dst_sel:DWORD dst_unused:UNUSED_PAD src0_sel:WORD_1 src1_sel:DWORD
	v_mul_f16_sdwa v7, v63, v12 dst_sel:DWORD dst_unused:UNUSED_PAD src0_sel:WORD_1 src1_sel:DWORD
	v_fma_f16 v6, v63, v12, v6
	v_fma_f16 v5, v63, v5, -v7
	v_pack_b32_f16 v5, v6, v5
	ds_write_b32 v57, v5 offset:1800
	s_waitcnt vmcnt(5)
	v_lshrrev_b32_e32 v5, 16, v13
	v_mul_f16_sdwa v6, v62, v5 dst_sel:DWORD dst_unused:UNUSED_PAD src0_sel:WORD_1 src1_sel:DWORD
	v_mul_f16_sdwa v7, v62, v13 dst_sel:DWORD dst_unused:UNUSED_PAD src0_sel:WORD_1 src1_sel:DWORD
	v_fma_f16 v6, v62, v13, v6
	v_fma_f16 v5, v62, v5, -v7
	v_pack_b32_f16 v5, v6, v5
	ds_write2_b32 v71, v1, v5 offset0:4 offset1:229
	s_waitcnt vmcnt(4)
	v_lshrrev_b32_e32 v1, 16, v16
	v_mul_f16_sdwa v5, v61, v1 dst_sel:DWORD dst_unused:UNUSED_PAD src0_sel:WORD_1 src1_sel:DWORD
	v_mul_f16_sdwa v6, v61, v16 dst_sel:DWORD dst_unused:UNUSED_PAD src0_sel:WORD_1 src1_sel:DWORD
	v_fma_f16 v5, v61, v16, v5
	v_fma_f16 v1, v61, v1, -v6
	v_pack_b32_f16 v1, v5, v1
	ds_write2_b32 v84, v2, v1 offset0:7 offset1:232
	s_waitcnt vmcnt(3)
	v_lshrrev_b32_e32 v1, 16, v17
	s_waitcnt vmcnt(2)
	v_mul_f16_sdwa v2, v59, v1 dst_sel:DWORD dst_unused:UNUSED_PAD src0_sel:WORD_1 src1_sel:DWORD
	v_mul_f16_sdwa v5, v59, v17 dst_sel:DWORD dst_unused:UNUSED_PAD src0_sel:WORD_1 src1_sel:DWORD
	v_fma_f16 v2, v59, v17, v2
	v_fma_f16 v1, v59, v1, -v5
	v_pack_b32_f16 v1, v2, v1
	ds_write2_b32 v69, v3, v1 offset0:10 offset1:235
	s_waitcnt vmcnt(1)
	v_lshrrev_b32_e32 v1, 16, v0
	v_mul_lo_u16_e32 v6, 5, v75
	s_waitcnt vmcnt(0)
	v_mul_f16_sdwa v2, v58, v1 dst_sel:DWORD dst_unused:UNUSED_PAD src0_sel:WORD_1 src1_sel:DWORD
	v_fma_f16 v2, v58, v0, v2
	v_mul_f16_sdwa v0, v58, v0 dst_sel:DWORD dst_unused:UNUSED_PAD src0_sel:WORD_1 src1_sel:DWORD
	v_fma_f16 v0, v58, v1, -v0
	v_pack_b32_f16 v0, v2, v0
	ds_write2_b32 v85, v4, v0 offset0:13 offset1:238
	s_waitcnt lgkmcnt(0)
	s_barrier
	ds_read2_b32 v[17:18], v57 offset1:225
	ds_read2_b32 v[0:1], v71 offset0:4 offset1:229
	ds_read2_b32 v[21:22], v79 offset0:6 offset1:231
	;; [unrolled: 1-line block ×4, first 2 shown]
	v_lshlrev_b32_e32 v83, 2, v6
	s_movk_i32 s6, 0x34f2
	s_waitcnt lgkmcnt(2)
	v_pk_add_f16 v9, v0, v22 neg_lo:[0,1] neg_hi:[0,1]
	s_waitcnt lgkmcnt(1)
	v_pk_add_f16 v6, v22, v2
	s_waitcnt lgkmcnt(0)
	v_pk_add_f16 v16, v0, v5 neg_lo:[0,1] neg_hi:[0,1]
	v_pk_fma_f16 v6, v6, 0.5, v18 op_sel_hi:[1,0,1] neg_lo:[1,0,0] neg_hi:[1,0,0]
	v_pk_mul_f16 v7, v16, s0 op_sel_hi:[1,0]
	v_pk_add_f16 v19, v22, v2 neg_lo:[0,1] neg_hi:[0,1]
	v_pk_add_f16 v10, v5, v2 neg_lo:[0,1] neg_hi:[0,1]
	v_pk_mul_f16 v8, v19, s1 op_sel_hi:[1,0]
	v_pk_add_f16 v20, v9, v10
	v_pk_add_f16 v9, v6, v7 op_sel:[0,1] op_sel_hi:[1,0]
	v_pk_add_f16 v6, v6, v7 op_sel:[0,1] op_sel_hi:[1,0] neg_lo:[0,1] neg_hi:[0,1]
	v_pk_add_f16 v27, v6, v8 op_sel:[0,1] op_sel_hi:[1,0] neg_lo:[0,1] neg_hi:[0,1]
	ds_read2_b32 v[6:7], v80 offset0:2 offset1:227
	v_pk_add_f16 v23, v9, v8 op_sel:[0,1] op_sel_hi:[1,0]
	ds_read2_b32 v[8:9], v78 offset0:8 offset1:233
	ds_read_b32 v10, v57 offset:12600
	s_waitcnt lgkmcnt(0)
	v_pk_add_f16 v11, v17, v7
	v_pk_add_f16 v11, v11, v21
	;; [unrolled: 1-line block ×5, first 2 shown]
	v_pk_add_f16 v12, v7, v4 neg_lo:[0,1] neg_hi:[0,1]
	v_pk_fma_f16 v13, v11, 0.5, v17 op_sel_hi:[1,0,1] neg_lo:[1,0,0] neg_hi:[1,0,0]
	v_pk_mul_f16 v14, v12, s0 op_sel_hi:[1,0]
	v_pk_add_f16 v15, v21, v9 neg_lo:[0,1] neg_hi:[0,1]
	v_pk_add_f16 v11, v7, v21 neg_lo:[0,1] neg_hi:[0,1]
	;; [unrolled: 1-line block ×3, first 2 shown]
	v_pk_add_f16 v11, v11, v29
	v_pk_add_f16 v29, v13, v14 op_sel:[0,1] op_sel_hi:[1,0]
	v_pk_add_f16 v14, v13, v14 op_sel:[0,1] op_sel_hi:[1,0] neg_lo:[0,1] neg_hi:[0,1]
	v_pk_mul_f16 v30, v15, s1 op_sel_hi:[1,0]
	v_pk_add_f16 v13, v29, v30 op_sel:[0,1] op_sel_hi:[1,0]
	v_pk_add_f16 v14, v14, v30 op_sel:[0,1] op_sel_hi:[1,0] neg_lo:[0,1] neg_hi:[0,1]
	v_bfi_b32 v29, s7, v13, v14
	v_pk_fma_f16 v29, v11, s6, v29 op_sel_hi:[1,0,1]
	s_barrier
	ds_write2_b32 v83, v28, v29 offset1:1
	v_pk_add_f16 v28, v22, v0 neg_lo:[0,1] neg_hi:[0,1]
	v_pk_add_f16 v29, v2, v5 neg_lo:[0,1] neg_hi:[0,1]
	v_pk_add_f16 v28, v28, v29
	v_pk_add_f16 v29, v0, v5
	v_pk_fma_f16 v29, v29, 0.5, v18 op_sel_hi:[1,0,1] neg_lo:[1,0,0] neg_hi:[1,0,0]
	v_pk_mul_f16 v19, v19, s0 op_sel_hi:[1,0]
	v_pk_add_f16 v30, v29, v19 op_sel:[0,1] op_sel_hi:[1,0] neg_lo:[0,1] neg_hi:[0,1]
	v_pk_add_f16 v19, v29, v19 op_sel:[0,1] op_sel_hi:[1,0]
	v_pk_mul_f16 v16, v16, s1 op_sel_hi:[1,0]
	v_pk_add_f16 v29, v30, v16 op_sel:[0,1] op_sel_hi:[1,0]
	v_pk_add_f16 v16, v19, v16 op_sel:[0,1] op_sel_hi:[1,0] neg_lo:[0,1] neg_hi:[0,1]
	v_bfi_b32 v19, s7, v29, v16
	v_bfi_b32 v16, s7, v16, v29
	v_pk_add_f16 v29, v18, v0
	v_pk_fma_f16 v0, v28, s6, v19 op_sel_hi:[1,0,1]
	v_bfi_b32 v18, s7, v23, v27
	v_bfi_b32 v23, s7, v27, v23
	v_pk_add_f16 v19, v7, v4
	v_pk_fma_f16 v19, v19, 0.5, v17 op_sel_hi:[1,0,1] neg_lo:[1,0,0] neg_hi:[1,0,0]
	s_movk_i32 s12, 0x1c2
	v_pk_fma_f16 v18, v20, s6, v18 op_sel_hi:[1,0,1]
	v_pk_fma_f16 v17, v20, s6, v23 op_sel_hi:[1,0,1]
	v_pk_add_f16 v20, v29, v22
	v_add_co_u32_e32 v51, vcc, s12, v75
	v_pk_add_f16 v2, v20, v2
	v_pk_add_f16 v2, v2, v5
	v_mul_u32_u24_e32 v5, 5, v51
	v_pk_add_f16 v7, v21, v7 neg_lo:[0,1] neg_hi:[0,1]
	v_pk_add_f16 v4, v9, v4 neg_lo:[0,1] neg_hi:[0,1]
	v_lshlrev_b32_e32 v100, 2, v5
	v_pk_mul_f16 v5, v15, s0 op_sel_hi:[1,0]
	v_pk_add_f16 v4, v7, v4
	v_pk_add_f16 v7, v19, v5 op_sel:[0,1] op_sel_hi:[1,0] neg_lo:[0,1] neg_hi:[0,1]
	v_pk_add_f16 v5, v19, v5 op_sel:[0,1] op_sel_hi:[1,0]
	v_pk_mul_f16 v12, v12, s1 op_sel_hi:[1,0]
	v_pk_add_f16 v7, v7, v12 op_sel:[0,1] op_sel_hi:[1,0]
	v_pk_add_f16 v5, v5, v12 op_sel:[0,1] op_sel_hi:[1,0] neg_lo:[0,1] neg_hi:[0,1]
	v_bfi_b32 v12, s7, v7, v5
	v_bfi_b32 v5, s7, v5, v7
	v_pk_fma_f16 v12, v4, s6, v12 op_sel_hi:[1,0,1]
	v_pk_fma_f16 v4, v4, s6, v5 op_sel_hi:[1,0,1]
	v_add_co_u32_e32 v47, vcc, s16, v75
	ds_write2_b32 v83, v12, v4 offset0:2 offset1:3
	v_bfi_b32 v4, s7, v14, v13
	v_mul_u32_u24_e32 v21, 5, v47
	v_pk_fma_f16 v4, v11, s6, v4 op_sel_hi:[1,0,1]
	v_pk_fma_f16 v16, v28, s6, v16 op_sel_hi:[1,0,1]
	v_lshlrev_b32_e32 v102, 2, v21
	ds_write_b32 v83, v4 offset:16
	ds_write2_b32 v102, v2, v18 offset1:1
	ds_write2_b32 v102, v0, v16 offset0:2 offset1:3
	ds_write_b32 v102, v17 offset:16
	v_pk_add_f16 v0, v8, v3
	v_pk_add_f16 v2, v1, v10 neg_lo:[0,1] neg_hi:[0,1]
	v_pk_fma_f16 v0, v0, 0.5, v6 op_sel_hi:[1,0,1] neg_lo:[1,0,0] neg_hi:[1,0,0]
	v_pk_mul_f16 v4, v2, s0 op_sel_hi:[1,0]
	v_pk_add_f16 v5, v8, v3 neg_lo:[0,1] neg_hi:[0,1]
	v_pk_add_f16 v11, v1, v8 neg_lo:[0,1] neg_hi:[0,1]
	v_pk_add_f16 v12, v10, v3 neg_lo:[0,1] neg_hi:[0,1]
	v_pk_add_f16 v9, v6, v1
	v_pk_mul_f16 v7, v5, s1 op_sel_hi:[1,0]
	v_pk_add_f16 v11, v11, v12
	v_pk_add_f16 v12, v0, v4 op_sel:[0,1] op_sel_hi:[1,0]
	v_pk_add_f16 v0, v0, v4 op_sel:[0,1] op_sel_hi:[1,0] neg_lo:[0,1] neg_hi:[0,1]
	v_pk_add_f16 v9, v9, v8
	v_pk_add_f16 v4, v12, v7 op_sel:[0,1] op_sel_hi:[1,0]
	v_pk_add_f16 v0, v0, v7 op_sel:[0,1] op_sel_hi:[1,0] neg_lo:[0,1] neg_hi:[0,1]
	v_addc_co_u32_e64 v37, s[12:13], 0, 0, vcc
	v_pk_add_f16 v9, v9, v3
	v_bfi_b32 v7, s7, v4, v0
	v_bfi_b32 v0, s7, v0, v4
	v_pk_add_f16 v9, v9, v10
	v_pk_fma_f16 v7, v11, s6, v7 op_sel_hi:[1,0,1]
	v_pk_fma_f16 v0, v11, s6, v0 op_sel_hi:[1,0,1]
	s_movk_i32 s12, 0xcd
	ds_write2_b32 v100, v9, v7 offset1:1
	v_pk_add_f16 v7, v1, v10
	v_pk_add_f16 v1, v8, v1 neg_lo:[0,1] neg_hi:[0,1]
	v_pk_add_f16 v3, v3, v10 neg_lo:[0,1] neg_hi:[0,1]
	ds_write_b32 v100, v0 offset:16
	v_mul_lo_u16_sdwa v0, v75, s12 dst_sel:DWORD dst_unused:UNUSED_PAD src0_sel:BYTE_0 src1_sel:DWORD
	v_pk_fma_f16 v6, v7, 0.5, v6 op_sel_hi:[1,0,1] neg_lo:[1,0,0] neg_hi:[1,0,0]
	v_pk_add_f16 v1, v1, v3
	v_pk_mul_f16 v3, v5, s0 op_sel_hi:[1,0]
	v_lshrrev_b16_e32 v7, 10, v0
	v_pk_mul_f16 v2, v2, s1 op_sel_hi:[1,0]
	v_pk_add_f16 v5, v6, v3 op_sel:[0,1] op_sel_hi:[1,0] neg_lo:[0,1] neg_hi:[0,1]
	v_pk_add_f16 v3, v6, v3 op_sel:[0,1] op_sel_hi:[1,0]
	v_mul_lo_u16_e32 v0, 5, v7
	v_pk_add_f16 v5, v5, v2 op_sel:[0,1] op_sel_hi:[1,0]
	v_pk_add_f16 v2, v3, v2 op_sel:[0,1] op_sel_hi:[1,0] neg_lo:[0,1] neg_hi:[0,1]
	v_sub_u16_e32 v0, v75, v0
	v_bfi_b32 v3, s7, v5, v2
	v_bfi_b32 v2, s7, v2, v5
	v_and_b32_e32 v8, 0xff, v0
	v_pk_fma_f16 v3, v1, s6, v3 op_sel_hi:[1,0,1]
	v_pk_fma_f16 v1, v1, s6, v2 op_sel_hi:[1,0,1]
	v_lshlrev_b32_e32 v0, 4, v8
	ds_write2_b32 v100, v3, v1 offset0:2 offset1:3
	s_waitcnt lgkmcnt(0)
	s_barrier
	global_load_dwordx4 v[12:15], v0, s[2:3]
	s_mov_b32 s12, 0xcccd
	v_mul_u32_u24_sdwa v10, v47, s12 dst_sel:DWORD dst_unused:UNUSED_PAD src0_sel:WORD_0 src1_sel:DWORD
	ds_read2_b32 v[0:1], v80 offset0:2 offset1:227
	ds_read2_b32 v[2:3], v79 offset0:6 offset1:231
	v_lshrrev_b32_e32 v11, 18, v10
	v_mul_lo_u16_e32 v10, 5, v11
	v_sub_u16_e32 v27, v47, v10
	v_lshlrev_b16_e32 v10, 2, v27
	s_waitcnt lgkmcnt(1)
	v_lshrrev_b32_e32 v6, 16, v1
	v_lshlrev_b32_e32 v10, 2, v10
	global_load_dwordx4 v[16:19], v10, s[2:3]
	s_waitcnt lgkmcnt(0)
	v_lshrrev_b32_e32 v9, 16, v2
	ds_read2_b32 v[4:5], v78 offset0:8 offset1:233
	v_mul_u32_u24_e32 v7, 25, v7
	v_add_lshl_u32 v95, v7, v8, 2
	s_mov_b32 s15, 0xbb9c
	s_mov_b32 s16, 0xb8b4
	s_waitcnt vmcnt(1)
	v_mul_f16_sdwa v10, v6, v12 dst_sel:DWORD dst_unused:UNUSED_PAD src0_sel:DWORD src1_sel:WORD_1
	v_fma_f16 v28, v1, v12, -v10
	v_mul_f16_sdwa v1, v1, v12 dst_sel:DWORD dst_unused:UNUSED_PAD src0_sel:DWORD src1_sel:WORD_1
	v_fma_f16 v29, v6, v12, v1
	v_mul_f16_sdwa v1, v2, v13 dst_sel:DWORD dst_unused:UNUSED_PAD src0_sel:DWORD src1_sel:WORD_1
	v_fma_f16 v30, v9, v13, v1
	v_mul_f16_sdwa v1, v9, v13 dst_sel:DWORD dst_unused:UNUSED_PAD src0_sel:DWORD src1_sel:WORD_1
	v_fma_f16 v31, v2, v13, -v1
	ds_read2_b32 v[1:2], v76 offset0:12 offset1:237
	s_waitcnt lgkmcnt(1)
	v_lshrrev_b32_e32 v6, 16, v5
	v_mul_f16_sdwa v9, v5, v14 dst_sel:DWORD dst_unused:UNUSED_PAD src0_sel:DWORD src1_sel:WORD_1
	v_fma_f16 v32, v6, v14, v9
	v_mul_f16_sdwa v6, v6, v14 dst_sel:DWORD dst_unused:UNUSED_PAD src0_sel:DWORD src1_sel:WORD_1
	v_fma_f16 v33, v5, v14, -v6
	s_waitcnt lgkmcnt(0)
	v_lshrrev_b32_e32 v5, 16, v1
	v_mul_f16_sdwa v6, v1, v15 dst_sel:DWORD dst_unused:UNUSED_PAD src0_sel:DWORD src1_sel:WORD_1
	v_fma_f16 v34, v5, v15, v6
	v_mul_f16_sdwa v5, v5, v15 dst_sel:DWORD dst_unused:UNUSED_PAD src0_sel:DWORD src1_sel:WORD_1
	v_fma_f16 v1, v1, v15, -v5
	v_sub_f16_e32 v5, v28, v31
	v_sub_f16_e32 v6, v1, v33
	v_add_f16_e32 v35, v5, v6
	ds_read2_b32 v[5:6], v57 offset1:225
	v_sub_f16_e32 v41, v29, v34
	v_sub_f16_e32 v44, v28, v1
	;; [unrolled: 1-line block ×4, first 2 shown]
	s_waitcnt lgkmcnt(0)
	v_lshrrev_b32_e32 v38, 16, v5
	v_add_f16_e32 v7, v5, v28
	v_add_f16_e32 v8, v38, v29
	;; [unrolled: 1-line block ×8, first 2 shown]
	v_pack_b32_f16 v39, v7, v8
	v_add_f16_e32 v7, v31, v33
	v_add_f16_e32 v8, v30, v32
	v_fma_f16 v40, v7, -0.5, v5
	v_fma_f16 v43, v8, -0.5, v38
	v_fma_f16 v7, v41, s0, v40
	v_sub_f16_e32 v42, v30, v32
	v_fma_f16 v8, v44, s15, v43
	v_sub_f16_e32 v45, v31, v33
	v_add_f16_e32 v36, v9, v10
	v_fma_f16 v7, v42, s1, v7
	v_fma_f16 v8, v45, s16, v8
	;; [unrolled: 1-line block ×4, first 2 shown]
	v_pack_b32_f16 v46, v7, v8
	v_mul_u32_u24_sdwa v7, v51, s12 dst_sel:DWORD dst_unused:UNUSED_PAD src0_sel:WORD_0 src1_sel:DWORD
	v_lshrrev_b32_e32 v48, 18, v7
	v_mul_lo_u16_e32 v7, 5, v48
	v_sub_u16_e32 v49, v51, v7
	v_lshlrev_b16_e32 v7, 2, v49
	v_lshlrev_b32_e32 v20, 2, v7
	ds_read_b32 v50, v57 offset:12600
	ds_read2_b32 v[7:8], v71 offset0:4 offset1:229
	ds_read2_b32 v[9:10], v69 offset0:10 offset1:235
	global_load_dwordx4 v[20:23], v20, s[2:3]
	v_sub_f16_e32 v31, v31, v28
	v_add_f16_e32 v28, v28, v1
	v_fma_f16 v5, v28, -0.5, v5
	v_sub_f16_e32 v1, v33, v1
	v_fma_f16 v28, v42, s15, v5
	v_fma_f16 v5, v42, s0, v5
	v_add_f16_e32 v1, v31, v1
	v_fma_f16 v28, v41, s1, v28
	v_fma_f16 v5, v41, s16, v5
	;; [unrolled: 1-line block ×4, first 2 shown]
	v_add_f16_e32 v5, v29, v34
	v_fma_f16 v5, v5, -0.5, v38
	v_sub_f16_e32 v29, v30, v29
	v_sub_f16_e32 v30, v32, v34
	v_add_f16_e32 v29, v29, v30
	v_fma_f16 v30, v45, s0, v5
	v_fma_f16 v5, v45, s15, v5
	;; [unrolled: 1-line block ×6, first 2 shown]
	v_pack_b32_f16 v28, v28, v30
	v_pack_b32_f16 v1, v1, v5
	s_waitcnt vmcnt(0) lgkmcnt(0)
	s_barrier
	ds_write2_b32 v95, v28, v1 offset0:10 offset1:15
	v_lshrrev_b32_e32 v1, 16, v3
	v_mul_f16_sdwa v5, v1, v17 dst_sel:DWORD dst_unused:UNUSED_PAD src0_sel:DWORD src1_sel:WORD_1
	v_fma_f16 v5, v3, v17, -v5
	v_mul_f16_sdwa v3, v3, v17 dst_sel:DWORD dst_unused:UNUSED_PAD src0_sel:DWORD src1_sel:WORD_1
	v_fma_f16 v1, v1, v17, v3
	v_lshrrev_b32_e32 v3, 16, v2
	v_mul_f16_sdwa v28, v3, v19 dst_sel:DWORD dst_unused:UNUSED_PAD src0_sel:DWORD src1_sel:WORD_1
	v_lshrrev_b32_e32 v30, 16, v7
	v_mul_f16_sdwa v31, v7, v16 dst_sel:DWORD dst_unused:UNUSED_PAD src0_sel:DWORD src1_sel:WORD_1
	v_fma_f16 v28, v2, v19, -v28
	v_mul_f16_sdwa v2, v2, v19 dst_sel:DWORD dst_unused:UNUSED_PAD src0_sel:DWORD src1_sel:WORD_1
	v_fma_f16 v31, v30, v16, v31
	v_mul_f16_sdwa v30, v30, v16 dst_sel:DWORD dst_unused:UNUSED_PAD src0_sel:DWORD src1_sel:WORD_1
	v_fma_f16 v2, v3, v19, v2
	v_fma_f16 v3, v41, s15, v40
	;; [unrolled: 1-line block ×3, first 2 shown]
	v_fma_f16 v7, v7, v16, -v30
	v_lshrrev_b32_e32 v30, 16, v9
	v_mul_f16_sdwa v32, v9, v18 dst_sel:DWORD dst_unused:UNUSED_PAD src0_sel:DWORD src1_sel:WORD_1
	v_fma_f16 v3, v42, s16, v3
	v_fma_f16 v29, v45, s1, v29
	;; [unrolled: 1-line block ×3, first 2 shown]
	v_mul_f16_sdwa v30, v30, v18 dst_sel:DWORD dst_unused:UNUSED_PAD src0_sel:DWORD src1_sel:WORD_1
	v_fma_f16 v3, v35, s6, v3
	v_fma_f16 v29, v36, s6, v29
	v_fma_f16 v9, v9, v18, -v30
	v_add_f16_e32 v30, v5, v9
	v_add_f16_e32 v33, v7, v28
	v_lshrrev_b32_e32 v34, 16, v6
	v_pack_b32_f16 v3, v3, v29
	v_fma_f16 v30, v30, -0.5, v6
	v_fma_f16 v33, v33, -0.5, v6
	v_add_f16_e32 v6, v6, v7
	ds_write_b32 v95, v3 offset:80
	v_mad_legacy_u16 v3, v11, 25, v27
	v_add_f16_e32 v11, v34, v31
	v_sub_f16_e32 v35, v7, v5
	v_sub_f16_e32 v36, v28, v9
	v_add_f16_e32 v6, v6, v5
	v_add_f16_e32 v11, v11, v1
	;; [unrolled: 1-line block ×3, first 2 shown]
	v_sub_f16_e32 v36, v31, v1
	v_sub_f16_e32 v38, v2, v32
	v_add_f16_e32 v6, v6, v9
	v_add_f16_e32 v11, v11, v32
	;; [unrolled: 1-line block ×6, first 2 shown]
	ds_write2_b32 v95, v39, v46 offset1:5
	v_pack_b32_f16 v6, v6, v11
	v_sub_f16_e32 v11, v31, v2
	v_fma_f16 v38, v38, -0.5, v34
	v_sub_f16_e32 v39, v7, v28
	v_fma_f16 v27, v11, s0, v30
	v_sub_f16_e32 v29, v1, v32
	v_fma_f16 v40, v39, s15, v38
	;; [unrolled: 2-line block ×3, first 2 shown]
	v_fma_f16 v40, v41, s16, v40
	v_fma_f16 v27, v35, s6, v27
	;; [unrolled: 1-line block ×3, first 2 shown]
	v_pack_b32_f16 v27, v27, v40
	v_lshlrev_b32_e32 v98, 2, v3
	v_sub_f16_e32 v3, v5, v7
	v_sub_f16_e32 v5, v9, v28
	ds_write2_b32 v98, v6, v27 offset1:5
	v_add_f16_e32 v3, v3, v5
	v_fma_f16 v5, v29, s15, v33
	v_fma_f16 v6, v29, s0, v33
	;; [unrolled: 1-line block ×6, first 2 shown]
	v_add_f16_e32 v6, v31, v2
	v_fma_f16 v6, v6, -0.5, v34
	v_sub_f16_e32 v1, v1, v31
	v_sub_f16_e32 v2, v32, v2
	v_add_f16_e32 v1, v1, v2
	v_fma_f16 v2, v41, s0, v6
	v_fma_f16 v6, v41, s15, v6
	;; [unrolled: 1-line block ×6, first 2 shown]
	v_pack_b32_f16 v2, v5, v2
	v_pack_b32_f16 v1, v3, v1
	ds_write2_b32 v98, v2, v1 offset0:10 offset1:15
	v_lshrrev_b32_e32 v1, 16, v8
	v_mul_f16_sdwa v3, v8, v20 dst_sel:DWORD dst_unused:UNUSED_PAD src0_sel:DWORD src1_sel:WORD_1
	v_mul_f16_sdwa v2, v1, v20 dst_sel:DWORD dst_unused:UNUSED_PAD src0_sel:DWORD src1_sel:WORD_1
	v_fma_f16 v1, v1, v20, v3
	v_lshrrev_b32_e32 v3, 16, v4
	v_mul_f16_sdwa v5, v3, v21 dst_sel:DWORD dst_unused:UNUSED_PAD src0_sel:DWORD src1_sel:WORD_1
	v_fma_f16 v5, v4, v21, -v5
	v_mul_f16_sdwa v4, v4, v21 dst_sel:DWORD dst_unused:UNUSED_PAD src0_sel:DWORD src1_sel:WORD_1
	v_fma_f16 v3, v3, v21, v4
	v_lshrrev_b32_e32 v4, 16, v10
	v_mul_f16_sdwa v7, v10, v22 dst_sel:DWORD dst_unused:UNUSED_PAD src0_sel:DWORD src1_sel:WORD_1
	v_mul_f16_sdwa v6, v4, v22 dst_sel:DWORD dst_unused:UNUSED_PAD src0_sel:DWORD src1_sel:WORD_1
	v_fma_f16 v4, v4, v22, v7
	v_lshrrev_b32_e32 v7, 16, v50
	v_mul_f16_sdwa v9, v50, v23 dst_sel:DWORD dst_unused:UNUSED_PAD src0_sel:DWORD src1_sel:WORD_1
	v_fma_f16 v2, v8, v20, -v2
	v_fma_f16 v6, v10, v22, -v6
	v_mul_f16_sdwa v8, v7, v23 dst_sel:DWORD dst_unused:UNUSED_PAD src0_sel:DWORD src1_sel:WORD_1
	v_fma_f16 v7, v7, v23, v9
	v_fma_f16 v9, v11, s15, v30
	;; [unrolled: 1-line block ×3, first 2 shown]
	v_fma_f16 v8, v50, v23, -v8
	v_fma_f16 v9, v29, s16, v9
	v_fma_f16 v10, v41, s1, v10
	;; [unrolled: 1-line block ×4, first 2 shown]
	v_add_f16_e32 v11, v5, v6
	v_add_f16_e32 v27, v2, v8
	v_lshrrev_b32_e32 v28, 16, v0
	v_fma_f16 v11, v11, -0.5, v0
	v_fma_f16 v27, v27, -0.5, v0
	v_add_f16_e32 v0, v0, v2
	v_pack_b32_f16 v9, v9, v10
	v_add_f16_e32 v10, v28, v1
	v_add_f16_e32 v0, v0, v5
	;; [unrolled: 1-line block ×5, first 2 shown]
	v_sub_f16_e32 v29, v2, v5
	v_sub_f16_e32 v30, v8, v6
	v_add_f16_e32 v0, v0, v8
	v_add_f16_e32 v10, v10, v7
	;; [unrolled: 1-line block ×4, first 2 shown]
	v_sub_f16_e32 v30, v1, v3
	v_sub_f16_e32 v31, v7, v4
	v_pack_b32_f16 v0, v0, v10
	v_sub_f16_e32 v10, v1, v7
	v_fma_f16 v33, v33, -0.5, v28
	v_sub_f16_e32 v34, v2, v8
	v_add_f16_e32 v30, v30, v31
	v_fma_f16 v31, v10, s0, v11
	v_sub_f16_e32 v32, v3, v4
	v_fma_f16 v35, v34, s15, v33
	v_sub_f16_e32 v36, v5, v6
	v_fma_f16 v31, v32, s1, v31
	v_fma_f16 v35, v36, s16, v35
	v_sub_f16_e32 v2, v5, v2
	v_sub_f16_e32 v5, v6, v8
	ds_write_b32 v98, v9 offset:80
	v_mad_legacy_u16 v9, v48, 25, v49
	v_fma_f16 v31, v29, s6, v31
	v_fma_f16 v35, v30, s6, v35
	v_add_f16_e32 v2, v2, v5
	v_fma_f16 v5, v32, s15, v27
	v_fma_f16 v6, v32, s0, v27
	v_pack_b32_f16 v31, v31, v35
	v_lshlrev_b32_e32 v99, 2, v9
	v_fma_f16 v5, v10, s1, v5
	v_fma_f16 v6, v10, s16, v6
	ds_write2_b32 v99, v0, v31 offset1:5
	v_fma_f16 v0, v10, s15, v11
	v_fma_f16 v5, v2, s6, v5
	;; [unrolled: 1-line block ×8, first 2 shown]
	v_pack_b32_f16 v0, v0, v6
	v_add_f16_e32 v8, v1, v7
	ds_write_b32 v99, v0 offset:80
	v_mov_b32_e32 v0, 41
	v_fma_f16 v8, v8, -0.5, v28
	v_sub_f16_e32 v1, v3, v1
	v_sub_f16_e32 v3, v4, v7
	v_mul_lo_u16_sdwa v0, v75, v0 dst_sel:DWORD dst_unused:UNUSED_PAD src0_sel:BYTE_0 src1_sel:DWORD
	v_add_f16_e32 v1, v1, v3
	v_fma_f16 v3, v36, s0, v8
	v_fma_f16 v4, v36, s15, v8
	v_lshrrev_b16_e32 v8, 10, v0
	v_mul_lo_u16_e32 v0, 25, v8
	v_fma_f16 v3, v34, s16, v3
	v_fma_f16 v4, v34, s1, v4
	v_sub_u16_e32 v0, v75, v0
	v_fma_f16 v3, v1, s6, v3
	v_fma_f16 v1, v1, s6, v4
	v_and_b32_e32 v9, 0xff, v0
	v_pack_b32_f16 v3, v5, v3
	v_pack_b32_f16 v1, v2, v1
	v_lshlrev_b32_e32 v0, 4, v9
	ds_write2_b32 v99, v3, v1 offset0:10 offset1:15
	s_waitcnt lgkmcnt(0)
	s_barrier
	global_load_dwordx4 v[0:3], v0, s[2:3] offset:80
	ds_read2_b32 v[27:28], v80 offset0:2 offset1:227
	s_movk_i32 s12, 0x47af
	v_mul_u32_u24_sdwa v4, v47, s12 dst_sel:DWORD dst_unused:UNUSED_PAD src0_sel:WORD_0 src1_sel:DWORD
	ds_read2_b32 v[29:30], v79 offset0:6 offset1:231
	v_sub_u16_sdwa v5, v47, v4 dst_sel:DWORD dst_unused:UNUSED_PAD src0_sel:DWORD src1_sel:WORD_1
	v_lshrrev_b16_e32 v5, 1, v5
	v_add_u16_sdwa v4, v5, v4 dst_sel:DWORD dst_unused:UNUSED_PAD src0_sel:DWORD src1_sel:WORD_1
	s_waitcnt lgkmcnt(1)
	v_lshrrev_b32_e32 v11, 16, v28
	v_lshrrev_b16_e32 v36, 4, v4
	v_mul_lo_u16_e32 v4, 25, v36
	v_sub_u16_e32 v40, v47, v4
	v_mul_u32_u24_sdwa v5, v51, s12 dst_sel:DWORD dst_unused:UNUSED_PAD src0_sel:WORD_0 src1_sel:DWORD
	v_lshlrev_b16_e32 v4, 4, v40
	v_sub_u16_sdwa v6, v51, v5 dst_sel:DWORD dst_unused:UNUSED_PAD src0_sel:DWORD src1_sel:WORD_1
	v_lshrrev_b16_e32 v6, 1, v6
	v_add_co_u32_e32 v4, vcc, s2, v4
	v_add_u16_sdwa v10, v6, v5 dst_sel:DWORD dst_unused:UNUSED_PAD src0_sel:DWORD src1_sel:WORD_1
	v_addc_co_u32_e32 v5, vcc, 0, v55, vcc
	global_load_dwordx4 v[4:7], v[4:5], off offset:80
	v_mul_u32_u24_e32 v8, 0x7d, v8
	v_add_lshl_u32 v87, v8, v9, 2
	v_lshrrev_b16_e32 v93, 4, v10
	s_movk_i32 s12, 0xff83
	s_waitcnt vmcnt(1)
	v_mul_f16_sdwa v31, v28, v0 dst_sel:DWORD dst_unused:UNUSED_PAD src0_sel:DWORD src1_sel:WORD_1
	v_fma_f16 v41, v11, v0, v31
	v_mul_f16_sdwa v11, v11, v0 dst_sel:DWORD dst_unused:UNUSED_PAD src0_sel:DWORD src1_sel:WORD_1
	v_fma_f16 v42, v28, v0, -v11
	s_waitcnt lgkmcnt(0)
	v_lshrrev_b32_e32 v11, 16, v29
	ds_read2_b32 v[31:32], v78 offset0:8 offset1:233
	v_mul_f16_sdwa v28, v29, v1 dst_sel:DWORD dst_unused:UNUSED_PAD src0_sel:DWORD src1_sel:WORD_1
	v_fma_f16 v43, v11, v1, v28
	v_mul_f16_sdwa v11, v11, v1 dst_sel:DWORD dst_unused:UNUSED_PAD src0_sel:DWORD src1_sel:WORD_1
	v_fma_f16 v44, v29, v1, -v11
	ds_read2_b32 v[28:29], v76 offset0:12 offset1:237
	s_waitcnt lgkmcnt(1)
	v_lshrrev_b32_e32 v11, 16, v32
	v_mul_f16_sdwa v33, v32, v2 dst_sel:DWORD dst_unused:UNUSED_PAD src0_sel:DWORD src1_sel:WORD_1
	v_fma_f16 v45, v11, v2, v33
	v_mul_f16_sdwa v11, v11, v2 dst_sel:DWORD dst_unused:UNUSED_PAD src0_sel:DWORD src1_sel:WORD_1
	v_fma_f16 v46, v32, v2, -v11
	s_waitcnt lgkmcnt(0)
	v_lshrrev_b32_e32 v11, 16, v28
	v_mul_f16_sdwa v32, v28, v3 dst_sel:DWORD dst_unused:UNUSED_PAD src0_sel:DWORD src1_sel:WORD_1
	v_fma_f16 v48, v11, v3, v32
	v_mul_f16_sdwa v11, v11, v3 dst_sel:DWORD dst_unused:UNUSED_PAD src0_sel:DWORD src1_sel:WORD_1
	v_fma_f16 v28, v28, v3, -v11
	v_sub_f16_e32 v11, v42, v44
	v_sub_f16_e32 v32, v28, v46
	v_add_f16_e32 v49, v11, v32
	ds_read2_b32 v[32:33], v57 offset1:225
	v_sub_f16_e32 v56, v41, v48
	v_sub_f16_e32 v89, v42, v28
	;; [unrolled: 1-line block ×4, first 2 shown]
	s_waitcnt lgkmcnt(0)
	v_lshrrev_b32_e32 v52, 16, v32
	v_add_f16_e32 v8, v32, v42
	v_add_f16_e32 v9, v52, v41
	;; [unrolled: 1-line block ×8, first 2 shown]
	v_pack_b32_f16 v53, v8, v9
	v_add_f16_e32 v8, v44, v46
	v_add_f16_e32 v9, v43, v45
	v_fma_f16 v54, v8, -0.5, v32
	v_fma_f16 v88, v9, -0.5, v52
	v_fma_f16 v8, v56, s0, v54
	v_sub_f16_e32 v86, v43, v45
	v_fma_f16 v9, v89, s15, v88
	v_sub_f16_e32 v90, v44, v46
	v_add_f16_e32 v50, v11, v34
	v_fma_f16 v8, v86, s1, v8
	v_fma_f16 v9, v90, s16, v9
	;; [unrolled: 1-line block ×4, first 2 shown]
	v_pack_b32_f16 v91, v8, v9
	v_mul_lo_u16_e32 v8, 25, v93
	v_sub_u16_e32 v94, v51, v8
	v_lshlrev_b16_e32 v8, 4, v94
	v_add_co_u32_e32 v8, vcc, s2, v8
	v_addc_co_u32_e32 v9, vcc, 0, v55, vcc
	ds_read_b32 v96, v57 offset:12600
	ds_read2_b32 v[34:35], v71 offset0:4 offset1:229
	ds_read2_b32 v[38:39], v69 offset0:10 offset1:235
	global_load_dwordx4 v[8:11], v[8:9], off offset:80
	v_sub_f16_e32 v44, v44, v42
	v_add_f16_e32 v42, v42, v28
	v_fma_f16 v32, v42, -0.5, v32
	v_sub_f16_e32 v28, v46, v28
	v_fma_f16 v42, v86, s15, v32
	v_fma_f16 v32, v86, s0, v32
	v_add_f16_e32 v28, v44, v28
	v_fma_f16 v42, v56, s1, v42
	v_fma_f16 v32, v56, s16, v32
	v_fma_f16 v42, v28, s6, v42
	v_fma_f16 v28, v28, s6, v32
	v_add_f16_e32 v32, v41, v48
	v_fma_f16 v32, v32, -0.5, v52
	v_sub_f16_e32 v41, v43, v41
	v_sub_f16_e32 v43, v45, v48
	v_add_f16_e32 v41, v41, v43
	v_fma_f16 v43, v90, s0, v32
	v_fma_f16 v32, v90, s15, v32
	;; [unrolled: 1-line block ×6, first 2 shown]
	v_pack_b32_f16 v41, v42, v43
	v_pack_b32_f16 v28, v28, v32
	s_waitcnt vmcnt(0) lgkmcnt(0)
	s_barrier
	ds_write2_b32 v87, v41, v28 offset0:50 offset1:75
	v_lshrrev_b32_e32 v28, 16, v30
	v_mul_f16_sdwa v32, v28, v5 dst_sel:DWORD dst_unused:UNUSED_PAD src0_sel:DWORD src1_sel:WORD_1
	v_fma_f16 v32, v30, v5, -v32
	v_mul_f16_sdwa v30, v30, v5 dst_sel:DWORD dst_unused:UNUSED_PAD src0_sel:DWORD src1_sel:WORD_1
	v_fma_f16 v28, v28, v5, v30
	v_lshrrev_b32_e32 v30, 16, v29
	v_mul_f16_sdwa v41, v30, v7 dst_sel:DWORD dst_unused:UNUSED_PAD src0_sel:DWORD src1_sel:WORD_1
	v_lshrrev_b32_e32 v43, 16, v34
	v_mul_f16_sdwa v44, v34, v4 dst_sel:DWORD dst_unused:UNUSED_PAD src0_sel:DWORD src1_sel:WORD_1
	v_fma_f16 v41, v29, v7, -v41
	v_mul_f16_sdwa v29, v29, v7 dst_sel:DWORD dst_unused:UNUSED_PAD src0_sel:DWORD src1_sel:WORD_1
	v_fma_f16 v44, v43, v4, v44
	v_mul_f16_sdwa v43, v43, v4 dst_sel:DWORD dst_unused:UNUSED_PAD src0_sel:DWORD src1_sel:WORD_1
	v_fma_f16 v29, v30, v7, v29
	v_fma_f16 v30, v56, s15, v54
	;; [unrolled: 1-line block ×3, first 2 shown]
	v_fma_f16 v34, v34, v4, -v43
	v_lshrrev_b32_e32 v43, 16, v38
	v_mul_f16_sdwa v45, v38, v6 dst_sel:DWORD dst_unused:UNUSED_PAD src0_sel:DWORD src1_sel:WORD_1
	v_fma_f16 v30, v86, s16, v30
	v_fma_f16 v42, v90, s1, v42
	;; [unrolled: 1-line block ×3, first 2 shown]
	v_mul_f16_sdwa v43, v43, v6 dst_sel:DWORD dst_unused:UNUSED_PAD src0_sel:DWORD src1_sel:WORD_1
	v_fma_f16 v30, v49, s6, v30
	v_fma_f16 v42, v50, s6, v42
	v_fma_f16 v38, v38, v6, -v43
	v_add_f16_e32 v43, v32, v38
	v_add_f16_e32 v46, v34, v41
	v_lshrrev_b32_e32 v48, 16, v33
	v_pack_b32_f16 v30, v30, v42
	v_fma_f16 v43, v43, -0.5, v33
	v_fma_f16 v46, v46, -0.5, v33
	v_add_f16_e32 v33, v33, v34
	ds_write_b32 v87, v30 offset:400
	v_mad_legacy_u16 v30, v36, s17, v40
	v_add_f16_e32 v36, v48, v44
	v_sub_f16_e32 v49, v34, v32
	v_sub_f16_e32 v50, v41, v38
	v_add_f16_e32 v33, v33, v32
	v_add_f16_e32 v36, v36, v28
	;; [unrolled: 1-line block ×3, first 2 shown]
	v_sub_f16_e32 v50, v44, v28
	v_sub_f16_e32 v52, v29, v45
	v_add_f16_e32 v33, v33, v38
	v_add_f16_e32 v36, v36, v45
	;; [unrolled: 1-line block ×6, first 2 shown]
	ds_write2_b32 v87, v53, v91 offset1:25
	v_pack_b32_f16 v33, v33, v36
	v_sub_f16_e32 v36, v44, v29
	v_fma_f16 v52, v52, -0.5, v48
	v_sub_f16_e32 v53, v34, v41
	v_fma_f16 v40, v36, s0, v43
	v_sub_f16_e32 v42, v28, v45
	v_fma_f16 v54, v53, s15, v52
	v_sub_f16_e32 v56, v32, v38
	v_fma_f16 v40, v42, s1, v40
	v_fma_f16 v54, v56, s16, v54
	v_fma_f16 v40, v49, s6, v40
	;; [unrolled: 1-line block ×3, first 2 shown]
	v_pack_b32_f16 v40, v40, v54
	v_lshlrev_b32_e32 v92, 2, v30
	v_sub_f16_e32 v30, v32, v34
	v_sub_f16_e32 v32, v38, v41
	ds_write2_b32 v92, v33, v40 offset1:25
	v_add_f16_e32 v30, v30, v32
	v_fma_f16 v32, v42, s15, v46
	v_fma_f16 v33, v42, s0, v46
	;; [unrolled: 1-line block ×6, first 2 shown]
	v_add_f16_e32 v33, v44, v29
	v_fma_f16 v33, v33, -0.5, v48
	v_sub_f16_e32 v28, v28, v44
	v_sub_f16_e32 v29, v45, v29
	v_add_f16_e32 v28, v28, v29
	v_fma_f16 v29, v56, s0, v33
	v_fma_f16 v33, v56, s15, v33
	v_fma_f16 v29, v53, s16, v29
	v_fma_f16 v33, v53, s1, v33
	v_fma_f16 v29, v28, s6, v29
	v_fma_f16 v28, v28, s6, v33
	v_pack_b32_f16 v29, v32, v29
	v_pack_b32_f16 v28, v30, v28
	ds_write2_b32 v92, v29, v28 offset0:50 offset1:75
	v_lshrrev_b32_e32 v28, 16, v35
	v_mul_f16_sdwa v30, v35, v8 dst_sel:DWORD dst_unused:UNUSED_PAD src0_sel:DWORD src1_sel:WORD_1
	v_mul_f16_sdwa v29, v28, v8 dst_sel:DWORD dst_unused:UNUSED_PAD src0_sel:DWORD src1_sel:WORD_1
	v_fma_f16 v28, v28, v8, v30
	v_lshrrev_b32_e32 v30, 16, v31
	v_mul_f16_sdwa v32, v30, v9 dst_sel:DWORD dst_unused:UNUSED_PAD src0_sel:DWORD src1_sel:WORD_1
	v_fma_f16 v32, v31, v9, -v32
	v_mul_f16_sdwa v31, v31, v9 dst_sel:DWORD dst_unused:UNUSED_PAD src0_sel:DWORD src1_sel:WORD_1
	v_fma_f16 v30, v30, v9, v31
	v_lshrrev_b32_e32 v31, 16, v39
	v_mul_f16_sdwa v34, v39, v10 dst_sel:DWORD dst_unused:UNUSED_PAD src0_sel:DWORD src1_sel:WORD_1
	v_mul_f16_sdwa v33, v31, v10 dst_sel:DWORD dst_unused:UNUSED_PAD src0_sel:DWORD src1_sel:WORD_1
	v_fma_f16 v31, v31, v10, v34
	v_lshrrev_b32_e32 v34, 16, v96
	v_mul_f16_sdwa v38, v96, v11 dst_sel:DWORD dst_unused:UNUSED_PAD src0_sel:DWORD src1_sel:WORD_1
	v_fma_f16 v29, v35, v8, -v29
	v_mul_f16_sdwa v35, v34, v11 dst_sel:DWORD dst_unused:UNUSED_PAD src0_sel:DWORD src1_sel:WORD_1
	v_fma_f16 v34, v34, v11, v38
	v_fma_f16 v36, v36, s15, v43
	;; [unrolled: 1-line block ×3, first 2 shown]
	v_fma_f16 v33, v39, v10, -v33
	v_fma_f16 v35, v96, v11, -v35
	v_fma_f16 v36, v42, s16, v36
	v_fma_f16 v38, v56, s1, v38
	;; [unrolled: 1-line block ×4, first 2 shown]
	v_add_f16_e32 v39, v32, v33
	v_add_f16_e32 v40, v29, v35
	v_lshrrev_b32_e32 v41, 16, v27
	v_fma_f16 v39, v39, -0.5, v27
	v_fma_f16 v40, v40, -0.5, v27
	v_add_f16_e32 v27, v27, v29
	v_pack_b32_f16 v36, v36, v38
	v_add_f16_e32 v38, v41, v28
	v_add_f16_e32 v27, v27, v32
	;; [unrolled: 1-line block ×5, first 2 shown]
	v_sub_f16_e32 v42, v29, v32
	v_sub_f16_e32 v43, v35, v33
	v_add_f16_e32 v27, v27, v35
	v_add_f16_e32 v38, v38, v34
	v_add_f16_e32 v46, v30, v31
	v_add_f16_e32 v42, v42, v43
	v_sub_f16_e32 v43, v28, v30
	v_sub_f16_e32 v44, v34, v31
	v_pack_b32_f16 v27, v27, v38
	v_sub_f16_e32 v38, v28, v34
	v_fma_f16 v46, v46, -0.5, v41
	v_sub_f16_e32 v48, v29, v35
	v_add_f16_e32 v43, v43, v44
	v_fma_f16 v44, v38, s0, v39
	v_sub_f16_e32 v45, v30, v31
	v_fma_f16 v49, v48, s15, v46
	v_sub_f16_e32 v50, v32, v33
	v_fma_f16 v44, v45, s1, v44
	v_fma_f16 v49, v50, s16, v49
	ds_write_b32 v92, v36 offset:400
	v_mad_legacy_u16 v36, v93, s17, v94
	v_fma_f16 v44, v42, s6, v44
	v_fma_f16 v49, v43, s6, v49
	v_pack_b32_f16 v44, v44, v49
	v_lshlrev_b32_e32 v93, 2, v36
	ds_write2_b32 v93, v27, v44 offset1:25
	v_sub_f16_e32 v27, v32, v29
	v_sub_f16_e32 v29, v33, v35
	v_add_f16_e32 v27, v27, v29
	v_fma_f16 v29, v45, s15, v40
	v_fma_f16 v32, v45, s0, v40
	;; [unrolled: 1-line block ×6, first 2 shown]
	v_add_f16_e32 v32, v28, v34
	v_fma_f16 v32, v32, -0.5, v41
	v_sub_f16_e32 v28, v30, v28
	v_sub_f16_e32 v30, v31, v34
	v_add_f16_e32 v28, v28, v30
	v_fma_f16 v30, v50, s0, v32
	v_fma_f16 v31, v50, s15, v32
	v_fma_f16 v30, v48, s16, v30
	v_fma_f16 v31, v48, s1, v31
	v_fma_f16 v30, v28, s6, v30
	v_fma_f16 v28, v28, s6, v31
	v_pack_b32_f16 v29, v29, v30
	v_pack_b32_f16 v27, v27, v28
	ds_write2_b32 v93, v29, v27 offset0:50 offset1:75
	v_add_co_u32_e32 v27, vcc, s12, v75
	v_addc_co_u32_e64 v28, s[12:13], 0, -1, vcc
	v_cmp_gt_u16_e32 vcc, s17, v75
	v_cndmask_b32_e64 v30, v28, 0, vcc
	v_cndmask_b32_e32 v29, v27, v75, vcc
	v_lshlrev_b64 v[27:28], 3, v[29:30]
	v_fma_f16 v30, v38, s15, v39
	v_fma_f16 v31, v48, s0, v46
	;; [unrolled: 1-line block ×4, first 2 shown]
	v_add_co_u32_e32 v27, vcc, s2, v27
	v_fma_f16 v30, v42, s6, v30
	v_fma_f16 v31, v43, s6, v31
	v_addc_co_u32_e32 v28, vcc, v55, v28, vcc
	v_pack_b32_f16 v30, v30, v31
	ds_write_b32 v93, v30 offset:400
	s_waitcnt lgkmcnt(0)
	s_barrier
	global_load_dwordx2 v[27:28], v[27:28], off offset:480
	s_movk_i32 s12, 0x7c
	v_mov_b32_e32 v30, 0x177
	v_cmp_lt_u16_e32 vcc, s12, v75
	v_cndmask_b32_e32 v30, 0, v30, vcc
	s_movk_i32 s12, 0x625
	v_add_lshl_u32 v86, v29, v30, 2
	v_mul_u32_u24_sdwa v29, v47, s12 dst_sel:DWORD dst_unused:UNUSED_PAD src0_sel:WORD_0 src1_sel:DWORD
	v_sub_u16_sdwa v30, v47, v29 dst_sel:DWORD dst_unused:UNUSED_PAD src0_sel:DWORD src1_sel:WORD_1
	v_lshrrev_b16_e32 v30, 1, v30
	v_add_u16_sdwa v29, v30, v29 dst_sel:DWORD dst_unused:UNUSED_PAD src0_sel:DWORD src1_sel:WORD_1
	v_lshrrev_b16_e32 v46, 6, v29
	v_mul_lo_u16_e32 v29, 0x7d, v46
	v_mul_u32_u24_sdwa v30, v51, s12 dst_sel:DWORD dst_unused:UNUSED_PAD src0_sel:WORD_0 src1_sel:DWORD
	v_sub_u16_e32 v50, v47, v29
	v_sub_u16_sdwa v31, v51, v30 dst_sel:DWORD dst_unused:UNUSED_PAD src0_sel:DWORD src1_sel:WORD_1
	v_lshlrev_b16_e32 v29, 3, v50
	v_lshrrev_b16_e32 v31, 1, v31
	s_movk_i32 s13, 0x2a3
	v_add_co_u32_e32 v29, vcc, s2, v29
	v_add_u16_sdwa v31, v31, v30 dst_sel:DWORD dst_unused:UNUSED_PAD src0_sel:DWORD src1_sel:WORD_1
	v_addc_co_u32_e32 v30, vcc, 0, v55, vcc
	global_load_dwordx2 v[29:30], v[29:30], off offset:480
	v_add_co_u32_e32 v53, vcc, s13, v75
	v_mul_u32_u24_sdwa v32, v53, s12 dst_sel:DWORD dst_unused:UNUSED_PAD src0_sel:WORD_0 src1_sel:DWORD
	v_sub_u16_sdwa v33, v53, v32 dst_sel:DWORD dst_unused:UNUSED_PAD src0_sel:DWORD src1_sel:WORD_1
	v_lshrrev_b16_e32 v52, 6, v31
	v_lshrrev_b16_e32 v33, 1, v33
	v_mul_lo_u16_e32 v31, 0x7d, v52
	v_add_u16_sdwa v32, v33, v32 dst_sel:DWORD dst_unused:UNUSED_PAD src0_sel:DWORD src1_sel:WORD_1
	s_movk_i32 s13, 0x384
	v_sub_u16_e32 v54, v51, v31
	v_add_co_u32_e32 v56, vcc, s13, v75
	v_lshlrev_b16_e32 v31, 3, v54
	v_lshrrev_b16_e32 v89, 6, v32
	v_add_co_u32_e32 v35, vcc, s2, v31
	v_mul_lo_u16_e32 v31, 0x7d, v89
	v_sub_u16_e32 v91, v53, v31
	v_mul_u32_u24_sdwa v33, v56, s12 dst_sel:DWORD dst_unused:UNUSED_PAD src0_sel:WORD_0 src1_sel:DWORD
	v_addc_co_u32_e32 v36, vcc, 0, v55, vcc
	v_lshlrev_b16_e32 v31, 3, v91
	v_sub_u16_sdwa v34, v56, v33 dst_sel:DWORD dst_unused:UNUSED_PAD src0_sel:DWORD src1_sel:WORD_1
	v_add_co_u32_e32 v40, vcc, s2, v31
	v_lshrrev_b16_e32 v34, 1, v34
	v_addc_co_u32_e32 v41, vcc, 0, v55, vcc
	v_add_u16_sdwa v44, v34, v33 dst_sel:DWORD dst_unused:UNUSED_PAD src0_sel:DWORD src1_sel:WORD_1
	ds_read2_b32 v[38:39], v71 offset0:4 offset1:229
	global_load_dwordx2 v[31:32], v[35:36], off offset:480
	global_load_dwordx2 v[33:34], v[40:41], off offset:480
	ds_read2_b32 v[40:41], v69 offset0:10 offset1:235
	ds_read2_b32 v[42:43], v57 offset1:225
	s_movk_i32 s12, 0x3aee
	s_waitcnt lgkmcnt(2)
	v_lshrrev_b32_e32 v35, 16, v39
	s_mov_b32 s13, 0xbaee
	s_waitcnt lgkmcnt(1)
	v_lshrrev_b32_e32 v45, 16, v40
	s_waitcnt lgkmcnt(0)
	v_lshrrev_b32_e32 v49, 16, v42
	v_lshrrev_b16_e32 v104, 6, v44
	s_movk_i32 s17, 0x177
	v_lshlrev_b32_e32 v51, 3, v51
	s_waitcnt vmcnt(3)
	v_mul_f16_sdwa v36, v39, v27 dst_sel:DWORD dst_unused:UNUSED_PAD src0_sel:DWORD src1_sel:WORD_1
	v_mul_f16_sdwa v48, v40, v28 dst_sel:DWORD dst_unused:UNUSED_PAD src0_sel:DWORD src1_sel:WORD_1
	v_fma_f16 v36, v35, v27, v36
	v_fma_f16 v48, v45, v28, v48
	v_add_f16_e32 v88, v49, v36
	v_sub_f16_e32 v90, v36, v48
	v_add_f16_e32 v36, v36, v48
	v_fma_f16 v94, v36, -0.5, v49
	v_mul_f16_sdwa v35, v35, v27 dst_sel:DWORD dst_unused:UNUSED_PAD src0_sel:DWORD src1_sel:WORD_1
	v_mul_f16_sdwa v36, v45, v28 dst_sel:DWORD dst_unused:UNUSED_PAD src0_sel:DWORD src1_sel:WORD_1
	v_fma_f16 v35, v39, v27, -v35
	v_fma_f16 v36, v40, v28, -v36
	v_add_f16_e32 v40, v35, v36
	v_add_f16_e32 v39, v42, v35
	v_sub_f16_e32 v101, v35, v36
	v_fma_f16 v42, v40, -0.5, v42
	v_add_f16_e32 v39, v39, v36
	v_fma_f16 v35, v90, s12, v42
	v_fma_f16 v36, v101, s13, v94
	v_pack_b32_f16 v103, v35, v36
	v_mul_lo_u16_e32 v35, 0x7d, v104
	v_sub_u16_e32 v105, v56, v35
	v_lshlrev_b16_e32 v35, 3, v105
	v_add_co_u32_e32 v35, vcc, s2, v35
	v_addc_co_u32_e32 v36, vcc, 0, v55, vcc
	global_load_dwordx2 v[35:36], v[35:36], off offset:480
	v_add_f16_e32 v88, v88, v48
	v_pack_b32_f16 v88, v39, v88
	ds_read_b32 v106, v57 offset:12600
	ds_read2_b32 v[39:40], v79 offset0:6 offset1:231
	ds_read2_b32 v[44:45], v80 offset0:2 offset1:227
	;; [unrolled: 1-line block ×4, first 2 shown]
	s_waitcnt vmcnt(0) lgkmcnt(0)
	s_barrier
	ds_write2_b32 v86, v88, v103 offset1:125
	v_lshrrev_b32_e32 v88, 16, v41
	v_mul_f16_sdwa v103, v88, v30 dst_sel:DWORD dst_unused:UNUSED_PAD src0_sel:DWORD src1_sel:WORD_1
	v_fma_f16 v103, v41, v30, -v103
	v_mul_f16_sdwa v41, v41, v30 dst_sel:DWORD dst_unused:UNUSED_PAD src0_sel:DWORD src1_sel:WORD_1
	v_fma_f16 v41, v88, v30, v41
	v_fma_f16 v42, v90, s13, v42
	;; [unrolled: 1-line block ×3, first 2 shown]
	v_lshrrev_b32_e32 v90, 16, v39
	v_mul_f16_sdwa v94, v39, v29 dst_sel:DWORD dst_unused:UNUSED_PAD src0_sel:DWORD src1_sel:WORD_1
	v_fma_f16 v94, v90, v29, v94
	v_mul_f16_sdwa v90, v90, v29 dst_sel:DWORD dst_unused:UNUSED_PAD src0_sel:DWORD src1_sel:WORD_1
	v_lshrrev_b32_e32 v101, 16, v43
	v_fma_f16 v39, v39, v29, -v90
	v_add_f16_e32 v107, v101, v94
	v_add_f16_e32 v90, v39, v103
	;; [unrolled: 1-line block ×3, first 2 shown]
	v_sub_f16_e32 v108, v94, v41
	v_add_f16_e32 v41, v94, v41
	v_fma_f16 v90, v90, -0.5, v43
	v_add_f16_e32 v43, v43, v39
	v_fma_f16 v41, v41, -0.5, v101
	v_sub_f16_e32 v39, v39, v103
	v_pack_b32_f16 v42, v42, v88
	v_add_f16_e32 v43, v43, v103
	ds_write_b32 v86, v42 offset:1000
	v_mad_legacy_u16 v42, v46, s17, v50
	v_fma_f16 v46, v108, s12, v90
	v_fma_f16 v50, v39, s13, v41
	v_pack_b32_f16 v43, v43, v107
	v_pack_b32_f16 v46, v46, v50
	v_lshlrev_b32_e32 v88, 2, v42
	v_lshrrev_b32_e32 v42, 16, v40
	ds_write2_b32 v88, v43, v46 offset1:125
	v_mul_f16_sdwa v43, v42, v31 dst_sel:DWORD dst_unused:UNUSED_PAD src0_sel:DWORD src1_sel:WORD_1
	v_fma_f16 v43, v40, v31, -v43
	v_mul_f16_sdwa v40, v40, v31 dst_sel:DWORD dst_unused:UNUSED_PAD src0_sel:DWORD src1_sel:WORD_1
	v_fma_f16 v39, v39, s12, v41
	v_lshrrev_b32_e32 v41, 16, v48
	v_mul_f16_sdwa v46, v48, v32 dst_sel:DWORD dst_unused:UNUSED_PAD src0_sel:DWORD src1_sel:WORD_1
	v_fma_f16 v40, v42, v31, v40
	v_fma_f16 v46, v41, v32, v46
	v_lshrrev_b32_e32 v50, 16, v44
	v_mul_f16_sdwa v41, v41, v32 dst_sel:DWORD dst_unused:UNUSED_PAD src0_sel:DWORD src1_sel:WORD_1
	v_fma_f16 v42, v108, s13, v90
	v_add_f16_e32 v90, v50, v40
	v_fma_f16 v41, v48, v32, -v41
	v_add_f16_e32 v90, v90, v46
	v_sub_f16_e32 v94, v40, v46
	v_add_f16_e32 v40, v40, v46
	v_add_f16_e32 v46, v44, v43
	v_add_f16_e32 v48, v43, v41
	v_fma_f16 v40, v40, -0.5, v50
	v_add_f16_e32 v46, v46, v41
	v_sub_f16_e32 v41, v43, v41
	v_pack_b32_f16 v39, v42, v39
	v_fma_f16 v43, v48, -0.5, v44
	ds_write_b32 v88, v39 offset:1000
	v_mad_legacy_u16 v39, v52, s17, v54
	v_pack_b32_f16 v42, v46, v90
	v_fma_f16 v44, v94, s12, v43
	v_fma_f16 v46, v41, s13, v40
	v_pack_b32_f16 v44, v44, v46
	v_lshlrev_b32_e32 v90, 2, v39
	ds_write2_b32 v90, v42, v44 offset1:125
	v_lshrrev_b32_e32 v39, 16, v49
	v_mul_f16_sdwa v44, v49, v34 dst_sel:DWORD dst_unused:UNUSED_PAD src0_sel:DWORD src1_sel:WORD_1
	v_mul_f16_sdwa v42, v39, v34 dst_sel:DWORD dst_unused:UNUSED_PAD src0_sel:DWORD src1_sel:WORD_1
	v_fma_f16 v39, v39, v34, v44
	v_fma_f16 v40, v41, s12, v40
	v_lshrrev_b32_e32 v41, 16, v96
	v_mul_f16_sdwa v44, v96, v33 dst_sel:DWORD dst_unused:UNUSED_PAD src0_sel:DWORD src1_sel:WORD_1
	v_fma_f16 v44, v41, v33, v44
	v_mul_f16_sdwa v41, v41, v33 dst_sel:DWORD dst_unused:UNUSED_PAD src0_sel:DWORD src1_sel:WORD_1
	v_fma_f16 v42, v49, v34, -v42
	v_fma_f16 v41, v96, v33, -v41
	v_lshrrev_b32_e32 v48, 16, v45
	v_add_f16_e32 v46, v41, v42
	v_add_f16_e32 v49, v48, v44
	v_fma_f16 v43, v94, s13, v43
	v_fma_f16 v46, v46, -0.5, v45
	v_add_f16_e32 v45, v45, v41
	v_add_f16_e32 v49, v49, v39
	v_sub_f16_e32 v50, v44, v39
	v_add_f16_e32 v39, v44, v39
	v_fma_f16 v39, v39, -0.5, v48
	v_add_f16_e32 v44, v45, v42
	v_sub_f16_e32 v41, v41, v42
	v_pack_b32_f16 v40, v43, v40
	ds_write_b32 v90, v40 offset:1000
	v_mad_legacy_u16 v40, v89, s17, v91
	v_pack_b32_f16 v42, v44, v49
	v_fma_f16 v43, v50, s12, v46
	v_fma_f16 v44, v41, s13, v39
	v_pack_b32_f16 v43, v43, v44
	v_lshlrev_b32_e32 v89, 2, v40
	ds_write2_b32 v89, v42, v43 offset1:125
	v_lshrrev_b32_e32 v40, 16, v97
	v_mul_f16_sdwa v43, v97, v35 dst_sel:DWORD dst_unused:UNUSED_PAD src0_sel:DWORD src1_sel:WORD_1
	v_mul_f16_sdwa v42, v40, v35 dst_sel:DWORD dst_unused:UNUSED_PAD src0_sel:DWORD src1_sel:WORD_1
	v_fma_f16 v40, v40, v35, v43
	v_lshrrev_b32_e32 v43, 16, v106
	v_mul_f16_sdwa v44, v43, v36 dst_sel:DWORD dst_unused:UNUSED_PAD src0_sel:DWORD src1_sel:WORD_1
	v_mul_f16_sdwa v45, v106, v36 dst_sel:DWORD dst_unused:UNUSED_PAD src0_sel:DWORD src1_sel:WORD_1
	v_fma_f16 v42, v97, v35, -v42
	v_fma_f16 v44, v106, v36, -v44
	v_fma_f16 v43, v43, v36, v45
	v_fma_f16 v45, v50, s13, v46
	v_lshrrev_b32_e32 v46, 16, v38
	v_fma_f16 v39, v41, s12, v39
	v_add_f16_e32 v41, v42, v44
	v_add_f16_e32 v48, v46, v40
	v_sub_f16_e32 v50, v40, v43
	v_add_f16_e32 v40, v40, v43
	v_fma_f16 v41, v41, -0.5, v38
	v_add_f16_e32 v38, v38, v42
	v_fma_f16 v40, v40, -0.5, v46
	v_sub_f16_e32 v42, v42, v44
	v_pack_b32_f16 v39, v45, v39
	v_add_f16_e32 v48, v48, v43
	v_add_f16_e32 v38, v38, v44
	ds_write_b32 v89, v39 offset:1000
	v_mad_legacy_u16 v39, v104, s17, v105
	v_fma_f16 v43, v50, s12, v41
	v_fma_f16 v44, v42, s13, v40
	v_pack_b32_f16 v38, v38, v48
	v_pack_b32_f16 v43, v43, v44
	v_lshlrev_b32_e32 v91, 2, v39
	ds_write2_b32 v91, v38, v43 offset1:125
	v_add_co_u32_e32 v38, vcc, s18, v75
	v_addc_co_u32_e64 v39, s[18:19], 0, -1, vcc
	v_cmp_gt_u16_e32 vcc, s20, v75
	v_cndmask_b32_e32 v49, v39, v37, vcc
	v_cndmask_b32_e32 v48, v38, v47, vcc
	v_fma_f16 v37, v50, s13, v41
	v_fma_f16 v38, v42, s12, v40
	v_pack_b32_f16 v37, v37, v38
	v_lshlrev_b32_e32 v52, 3, v75
	ds_write_b32 v91, v37 offset:1000
	s_waitcnt lgkmcnt(0)
	s_barrier
	global_load_dwordx2 v[37:38], v52, s[2:3] offset:1480
	v_lshlrev_b64 v[39:40], 3, v[48:49]
	s_movk_i32 s18, 0x5d87
	v_mul_u32_u24_sdwa v41, v53, s18 dst_sel:DWORD dst_unused:UNUSED_PAD src0_sel:WORD_0 src1_sel:DWORD
	v_add_co_u32_e32 v39, vcc, s2, v39
	v_sub_u16_sdwa v42, v53, v41 dst_sel:DWORD dst_unused:UNUSED_PAD src0_sel:DWORD src1_sel:WORD_1
	v_addc_co_u32_e32 v40, vcc, v55, v40, vcc
	v_lshrrev_b16_e32 v42, 1, v42
	global_load_dwordx2 v[39:40], v[39:40], off offset:1480
	v_add_u16_sdwa v41, v42, v41 dst_sel:DWORD dst_unused:UNUSED_PAD src0_sel:DWORD src1_sel:WORD_1
	v_lshrrev_b16_e32 v54, 8, v41
	v_mul_lo_u16_e32 v41, 0x177, v54
	v_sub_u16_e32 v101, v53, v41
	v_lshlrev_b16_e32 v41, 3, v101
	v_add_co_u32_e32 v45, vcc, s2, v41
	v_addc_co_u32_e32 v46, vcc, 0, v55, vcc
	global_load_dwordx2 v[43:44], v[45:46], off offset:1480
	global_load_dwordx2 v[41:42], v52, s[2:3] offset:2080
	v_mul_u32_u24_sdwa v45, v56, s18 dst_sel:DWORD dst_unused:UNUSED_PAD src0_sel:WORD_0 src1_sel:DWORD
	v_sub_u16_sdwa v46, v56, v45 dst_sel:DWORD dst_unused:UNUSED_PAD src0_sel:DWORD src1_sel:WORD_1
	v_lshrrev_b16_e32 v46, 1, v46
	v_add_u16_sdwa v45, v46, v45 dst_sel:DWORD dst_unused:UNUSED_PAD src0_sel:DWORD src1_sel:WORD_1
	v_mul_lo_u16_sdwa v45, v45, s17 dst_sel:DWORD dst_unused:UNUSED_PAD src0_sel:BYTE_1 src1_sel:DWORD
	v_sub_u16_e32 v103, v56, v45
	v_lshlrev_b16_e32 v45, 3, v103
	v_add_co_u32_e32 v45, vcc, s2, v45
	v_addc_co_u32_e32 v46, vcc, 0, v55, vcc
	global_load_dwordx2 v[45:46], v[45:46], off offset:1480
	ds_read2_b32 v[49:50], v69 offset0:10 offset1:235
	s_movk_i32 s3, 0x95
	v_mov_b32_e32 v94, 0x465
	v_cmp_lt_u16_e32 vcc, s3, v75
	v_cndmask_b32_e32 v94, 0, v94, vcc
	v_add_lshl_u32 v94, v48, v94, 2
	s_waitcnt lgkmcnt(0)
	v_lshrrev_b32_e32 v48, 16, v49
	s_movk_i32 s3, 0x465
	v_lshlrev_b32_e32 v47, 3, v47
	v_lshlrev_b32_e32 v53, 3, v53
	;; [unrolled: 1-line block ×3, first 2 shown]
	s_waitcnt vmcnt(4)
	v_mul_f16_sdwa v96, v49, v38 dst_sel:DWORD dst_unused:UNUSED_PAD src0_sel:DWORD src1_sel:WORD_1
	v_fma_f16 v104, v48, v38, v96
	v_mul_f16_sdwa v48, v48, v38 dst_sel:DWORD dst_unused:UNUSED_PAD src0_sel:DWORD src1_sel:WORD_1
	v_fma_f16 v105, v49, v38, -v48
	ds_read2_b32 v[48:49], v79 offset0:6 offset1:231
	v_lshrrev_b32_e32 v96, 16, v50
	s_waitcnt vmcnt(3)
	v_mul_f16_sdwa v97, v96, v40 dst_sel:DWORD dst_unused:UNUSED_PAD src0_sel:DWORD src1_sel:WORD_1
	v_fma_f16 v106, v50, v40, -v97
	v_mul_f16_sdwa v50, v50, v40 dst_sel:DWORD dst_unused:UNUSED_PAD src0_sel:DWORD src1_sel:WORD_1
	v_fma_f16 v50, v96, v40, v50
	s_waitcnt lgkmcnt(0)
	v_lshrrev_b32_e32 v96, 16, v48
	v_mul_f16_sdwa v97, v48, v39 dst_sel:DWORD dst_unused:UNUSED_PAD src0_sel:DWORD src1_sel:WORD_1
	v_fma_f16 v107, v96, v39, v97
	v_mul_f16_sdwa v96, v96, v39 dst_sel:DWORD dst_unused:UNUSED_PAD src0_sel:DWORD src1_sel:WORD_1
	v_fma_f16 v108, v48, v39, -v96
	ds_read2_b32 v[96:97], v76 offset0:12 offset1:237
	v_lshrrev_b32_e32 v48, 16, v49
	s_waitcnt vmcnt(1)
	v_mul_f16_sdwa v109, v48, v41 dst_sel:DWORD dst_unused:UNUSED_PAD src0_sel:DWORD src1_sel:WORD_1
	v_fma_f16 v109, v49, v41, -v109
	v_mul_f16_sdwa v49, v49, v41 dst_sel:DWORD dst_unused:UNUSED_PAD src0_sel:DWORD src1_sel:WORD_1
	v_fma_f16 v110, v48, v41, v49
	s_waitcnt lgkmcnt(0)
	v_lshrrev_b32_e32 v48, 16, v96
	v_mul_f16_sdwa v49, v96, v42 dst_sel:DWORD dst_unused:UNUSED_PAD src0_sel:DWORD src1_sel:WORD_1
	v_fma_f16 v111, v48, v42, v49
	v_mul_f16_sdwa v48, v48, v42 dst_sel:DWORD dst_unused:UNUSED_PAD src0_sel:DWORD src1_sel:WORD_1
	v_fma_f16 v112, v96, v42, -v48
	ds_read2_b32 v[48:49], v78 offset0:8 offset1:233
	v_lshrrev_b32_e32 v96, 16, v97
	v_mul_f16_sdwa v113, v96, v44 dst_sel:DWORD dst_unused:UNUSED_PAD src0_sel:DWORD src1_sel:WORD_1
	v_fma_f16 v113, v97, v44, -v113
	v_mul_f16_sdwa v97, v97, v44 dst_sel:DWORD dst_unused:UNUSED_PAD src0_sel:DWORD src1_sel:WORD_1
	v_fma_f16 v114, v96, v44, v97
	s_waitcnt lgkmcnt(0)
	v_lshrrev_b32_e32 v96, 16, v48
	v_mul_f16_sdwa v97, v48, v43 dst_sel:DWORD dst_unused:UNUSED_PAD src0_sel:DWORD src1_sel:WORD_1
	v_fma_f16 v115, v96, v43, v97
	v_mul_f16_sdwa v96, v96, v43 dst_sel:DWORD dst_unused:UNUSED_PAD src0_sel:DWORD src1_sel:WORD_1
	v_fma_f16 v116, v48, v43, -v96
	ds_read_b32 v96, v57 offset:12600
	v_lshrrev_b32_e32 v48, 16, v49
	s_waitcnt vmcnt(0)
	v_mul_f16_sdwa v97, v48, v45 dst_sel:DWORD dst_unused:UNUSED_PAD src0_sel:DWORD src1_sel:WORD_1
	v_fma_f16 v117, v49, v45, -v97
	v_mul_f16_sdwa v49, v49, v45 dst_sel:DWORD dst_unused:UNUSED_PAD src0_sel:DWORD src1_sel:WORD_1
	v_fma_f16 v118, v48, v45, v49
	ds_read2_b32 v[48:49], v71 offset0:4 offset1:229
	s_waitcnt lgkmcnt(1)
	v_lshrrev_b32_e32 v97, 16, v96
	v_mul_f16_sdwa v119, v97, v46 dst_sel:DWORD dst_unused:UNUSED_PAD src0_sel:DWORD src1_sel:WORD_1
	v_fma_f16 v119, v96, v46, -v119
	v_mul_f16_sdwa v96, v96, v46 dst_sel:DWORD dst_unused:UNUSED_PAD src0_sel:DWORD src1_sel:WORD_1
	v_fma_f16 v120, v97, v46, v96
	ds_read2_b32 v[96:97], v57 offset1:225
	s_waitcnt lgkmcnt(1)
	v_lshrrev_b32_e32 v121, 16, v49
	v_mul_f16_sdwa v122, v49, v37 dst_sel:DWORD dst_unused:UNUSED_PAD src0_sel:DWORD src1_sel:WORD_1
	v_fma_f16 v122, v121, v37, v122
	v_mul_f16_sdwa v121, v121, v37 dst_sel:DWORD dst_unused:UNUSED_PAD src0_sel:DWORD src1_sel:WORD_1
	v_fma_f16 v49, v49, v37, -v121
	v_add_f16_e32 v121, v49, v105
	s_waitcnt lgkmcnt(0)
	v_fma_f16 v121, v121, -0.5, v96
	v_sub_f16_e32 v123, v122, v104
	v_fma_f16 v124, v123, s12, v121
	v_fma_f16 v121, v123, s13, v121
	v_lshrrev_b32_e32 v123, 16, v96
	v_add_f16_e32 v125, v123, v122
	v_add_f16_e32 v125, v125, v104
	;; [unrolled: 1-line block ×3, first 2 shown]
	v_fma_f16 v104, v104, -0.5, v123
	v_add_f16_e32 v96, v96, v49
	v_sub_f16_e32 v49, v49, v105
	v_add_f16_e32 v96, v96, v105
	v_fma_f16 v105, v49, s13, v104
	v_fma_f16 v104, v49, s12, v104
	v_add_f16_e32 v49, v108, v106
	v_fma_f16 v49, v49, -0.5, v97
	v_lshrrev_b32_e32 v122, 16, v97
	v_sub_f16_e32 v123, v107, v50
	v_fma_f16 v126, v123, s12, v49
	v_fma_f16 v123, v123, s13, v49
	v_add_f16_e32 v49, v122, v107
	v_add_f16_e32 v127, v49, v50
	;; [unrolled: 1-line block ×3, first 2 shown]
	v_fma_f16 v107, v49, -0.5, v122
	ds_read2_b32 v[49:50], v80 offset0:2 offset1:227
	v_add_f16_e32 v97, v97, v108
	v_add_f16_e32 v97, v97, v106
	v_sub_f16_e32 v106, v108, v106
	v_fma_f16 v108, v106, s13, v107
	v_fma_f16 v106, v106, s12, v107
	v_add_f16_e32 v107, v109, v112
	s_waitcnt lgkmcnt(0)
	v_fma_f16 v107, v107, -0.5, v49
	v_sub_f16_e32 v122, v110, v111
	v_fma_f16 v128, v122, s12, v107
	v_fma_f16 v107, v122, s13, v107
	v_lshrrev_b32_e32 v122, 16, v49
	v_add_f16_e32 v129, v122, v110
	v_add_f16_e32 v110, v110, v111
	v_fma_f16 v110, v110, -0.5, v122
	v_add_f16_e32 v49, v49, v109
	v_sub_f16_e32 v109, v109, v112
	v_pack_b32_f16 v96, v96, v125
	v_add_f16_e32 v129, v129, v111
	v_fma_f16 v111, v109, s13, v110
	v_fma_f16 v109, v109, s12, v110
	v_add_f16_e32 v110, v116, v113
	s_barrier
	ds_write_b32 v57, v96
	v_pack_b32_f16 v96, v124, v105
	v_add_f16_e32 v49, v49, v112
	v_fma_f16 v110, v110, -0.5, v50
	v_lshrrev_b32_e32 v112, 16, v50
	v_sub_f16_e32 v122, v115, v114
	ds_write_b32 v57, v96 offset:1500
	v_pack_b32_f16 v96, v121, v104
	v_fma_f16 v130, v122, s12, v110
	v_fma_f16 v110, v122, s13, v110
	v_add_f16_e32 v122, v112, v115
	ds_write_b32 v57, v96 offset:3000
	v_pack_b32_f16 v96, v97, v127
	v_add_f16_e32 v50, v50, v116
	v_add_f16_e32 v122, v122, v114
	;; [unrolled: 1-line block ×3, first 2 shown]
	ds_write_b32 v94, v96
	v_pack_b32_f16 v96, v126, v108
	v_fma_f16 v112, v114, -0.5, v112
	v_add_f16_e32 v50, v50, v113
	v_sub_f16_e32 v113, v116, v113
	ds_write_b32 v94, v96 offset:1500
	v_pack_b32_f16 v96, v123, v106
	v_pack_b32_f16 v49, v49, v129
	v_fma_f16 v114, v113, s13, v112
	v_fma_f16 v112, v113, s12, v112
	v_add_f16_e32 v113, v117, v119
	ds_write_b32 v94, v96 offset:3000
	ds_write_b32 v57, v49 offset:4800
	v_pack_b32_f16 v49, v128, v111
	v_fma_f16 v113, v113, -0.5, v48
	v_lshrrev_b32_e32 v115, 16, v48
	v_sub_f16_e32 v116, v118, v120
	ds_write_b32 v57, v49 offset:6300
	v_pack_b32_f16 v49, v107, v109
	v_add_f16_e32 v48, v48, v117
	v_fma_f16 v131, v116, s12, v113
	v_fma_f16 v113, v116, s13, v113
	v_add_f16_e32 v116, v115, v118
	v_add_f16_e32 v118, v118, v120
	ds_write_b32 v57, v49 offset:7800
	v_mad_legacy_u16 v49, v54, s3, v101
	v_add_f16_e32 v116, v116, v120
	v_fma_f16 v115, v118, -0.5, v115
	v_add_f16_e32 v48, v48, v119
	v_sub_f16_e32 v117, v117, v119
	v_lshlrev_b32_e32 v96, 2, v49
	v_pack_b32_f16 v49, v130, v114
	v_fma_f16 v118, v117, s13, v115
	v_pack_b32_f16 v50, v50, v122
	ds_write_b32 v96, v49 offset:1500
	v_pack_b32_f16 v49, v110, v112
	v_pack_b32_f16 v48, v48, v116
	v_lshlrev_b32_e32 v97, 2, v103
	v_fma_f16 v115, v117, s12, v115
	ds_write_b32 v96, v50
	ds_write_b32 v96, v49 offset:3000
	ds_write_b32 v97, v48 offset:9000
	v_pack_b32_f16 v48, v131, v118
	ds_write_b32 v97, v48 offset:10500
	v_pack_b32_f16 v48, v113, v115
	ds_write_b32 v97, v48 offset:12000
	v_add_co_u32_e32 v48, vcc, s2, v52
	v_addc_co_u32_e32 v49, vcc, 0, v55, vcc
	v_add_co_u32_e32 v48, vcc, s14, v48
	v_addc_co_u32_e32 v49, vcc, 0, v49, vcc
	v_add_co_u32_e32 v47, vcc, s2, v47
	s_waitcnt lgkmcnt(0)
	s_barrier
	global_load_dwordx2 v[49:50], v[48:49], off offset:384
	v_addc_co_u32_e32 v48, vcc, 0, v55, vcc
	v_add_co_u32_e32 v47, vcc, s14, v47
	v_addc_co_u32_e32 v48, vcc, 0, v48, vcc
	global_load_dwordx2 v[47:48], v[47:48], off offset:384
	ds_read2_b32 v[103:104], v69 offset0:10 offset1:235
	v_add_co_u32_e32 v51, vcc, s2, v51
	v_addc_co_u32_e32 v52, vcc, 0, v55, vcc
	v_add_co_u32_e32 v51, vcc, s14, v51
	v_addc_co_u32_e32 v52, vcc, 0, v52, vcc
	global_load_dwordx2 v[51:52], v[51:52], off offset:384
	v_add_co_u32_e32 v53, vcc, s2, v53
	s_waitcnt lgkmcnt(0)
	v_lshrrev_b32_e32 v101, 16, v103
	v_addc_co_u32_e32 v54, vcc, 0, v55, vcc
	v_add_co_u32_e32 v53, vcc, s14, v53
	v_addc_co_u32_e32 v54, vcc, 0, v54, vcc
	global_load_dwordx2 v[53:54], v[53:54], off offset:384
	v_add_co_u32_e32 v56, vcc, s2, v56
	s_movk_i32 s2, 0x34bc
	s_waitcnt vmcnt(3)
	v_mul_f16_sdwa v105, v103, v50 dst_sel:DWORD dst_unused:UNUSED_PAD src0_sel:DWORD src1_sel:WORD_1
	v_fma_f16 v107, v101, v50, v105
	v_mul_f16_sdwa v101, v101, v50 dst_sel:DWORD dst_unused:UNUSED_PAD src0_sel:DWORD src1_sel:WORD_1
	ds_read2_b32 v[105:106], v71 offset0:4 offset1:229
	v_fma_f16 v101, v103, v50, -v101
	v_lshrrev_b32_e32 v103, 16, v104
	s_waitcnt vmcnt(2)
	v_mul_f16_sdwa v108, v103, v48 dst_sel:DWORD dst_unused:UNUSED_PAD src0_sel:DWORD src1_sel:WORD_1
	v_fma_f16 v112, v104, v48, -v108
	v_mul_f16_sdwa v104, v104, v48 dst_sel:DWORD dst_unused:UNUSED_PAD src0_sel:DWORD src1_sel:WORD_1
	v_fma_f16 v113, v103, v48, v104
	ds_read2_b32 v[103:104], v57 offset1:225
	s_waitcnt lgkmcnt(1)
	v_lshrrev_b32_e32 v108, 16, v106
	v_mul_f16_sdwa v109, v106, v49 dst_sel:DWORD dst_unused:UNUSED_PAD src0_sel:DWORD src1_sel:WORD_1
	v_fma_f16 v109, v108, v49, v109
	v_mul_f16_sdwa v108, v108, v49 dst_sel:DWORD dst_unused:UNUSED_PAD src0_sel:DWORD src1_sel:WORD_1
	v_fma_f16 v108, v106, v49, -v108
	v_add_f16_e32 v106, v108, v101
	s_waitcnt lgkmcnt(0)
	v_fma_f16 v106, v106, -0.5, v103
	v_sub_f16_e32 v110, v109, v107
	v_fma_f16 v111, v110, s12, v106
	v_fma_f16 v114, v110, s13, v106
	v_lshrrev_b32_e32 v106, 16, v103
	v_add_f16_e32 v110, v106, v109
	v_add_f16_e32 v110, v110, v107
	v_add_f16_e32 v107, v109, v107
	v_fma_f16 v109, v107, -0.5, v106
	ds_read2_b32 v[106:107], v79 offset0:6 offset1:231
	v_add_f16_e32 v103, v103, v108
	v_add_f16_e32 v103, v103, v101
	v_sub_f16_e32 v101, v108, v101
	v_fma_f16 v108, v101, s13, v109
	v_fma_f16 v101, v101, s12, v109
	s_waitcnt lgkmcnt(0)
	v_lshrrev_b32_e32 v109, 16, v106
	v_mul_f16_sdwa v115, v106, v47 dst_sel:DWORD dst_unused:UNUSED_PAD src0_sel:DWORD src1_sel:WORD_1
	v_fma_f16 v115, v109, v47, v115
	v_mul_f16_sdwa v109, v109, v47 dst_sel:DWORD dst_unused:UNUSED_PAD src0_sel:DWORD src1_sel:WORD_1
	v_fma_f16 v106, v106, v47, -v109
	v_addc_co_u32_e32 v109, vcc, 0, v55, vcc
	v_add_co_u32_e32 v55, vcc, s14, v56
	v_addc_co_u32_e32 v56, vcc, 0, v109, vcc
	global_load_dwordx2 v[55:56], v[55:56], off offset:384
	v_lshrrev_b32_e32 v117, 16, v104
	v_add_f16_e32 v109, v106, v112
	v_add_f16_e32 v118, v104, v106
	v_pack_b32_f16 v101, v114, v101
	v_add_f16_e32 v114, v117, v115
	v_fma_f16 v116, v109, -0.5, v104
	v_pack_b32_f16 v119, v103, v110
	v_pack_b32_f16 v120, v111, v108
	ds_read2_b32 v[103:104], v80 offset0:2 offset1:227
	ds_read2_b32 v[108:109], v76 offset0:12 offset1:237
	;; [unrolled: 1-line block ×3, first 2 shown]
	ds_write_b32 v57, v101 offset:9000
	v_add_f16_e32 v101, v118, v112
	v_add_f16_e32 v114, v114, v113
	v_pack_b32_f16 v101, v101, v114
	ds_write_b32 v57, v120 offset:4500
	ds_read_b32 v114, v57 offset:12600
	ds_write2_b32 v57, v119, v101 offset1:225
	v_lshrrev_b32_e32 v101, 16, v107
	s_waitcnt vmcnt(2)
	v_mul_f16_sdwa v118, v101, v51 dst_sel:DWORD dst_unused:UNUSED_PAD src0_sel:DWORD src1_sel:WORD_1
	v_fma_f16 v118, v107, v51, -v118
	v_mul_f16_sdwa v107, v107, v51 dst_sel:DWORD dst_unused:UNUSED_PAD src0_sel:DWORD src1_sel:WORD_1
	v_fma_f16 v107, v101, v51, v107
	v_sub_f16_e32 v101, v115, v113
	v_add_f16_e32 v113, v115, v113
	v_fma_f16 v113, v113, -0.5, v117
	v_sub_f16_e32 v106, v106, v112
	v_fma_f16 v112, v101, s12, v116
	v_fma_f16 v115, v106, s13, v113
	v_pack_b32_f16 v112, v112, v115
	s_waitcnt lgkmcnt(5)
	v_lshrrev_b32_e32 v115, 16, v108
	v_mul_f16_sdwa v117, v108, v52 dst_sel:DWORD dst_unused:UNUSED_PAD src0_sel:DWORD src1_sel:WORD_1
	v_fma_f16 v117, v115, v52, v117
	v_mul_f16_sdwa v115, v115, v52 dst_sel:DWORD dst_unused:UNUSED_PAD src0_sel:DWORD src1_sel:WORD_1
	v_fma_f16 v108, v108, v52, -v115
	v_add_f16_e32 v115, v118, v108
	v_lshrrev_b32_e32 v119, 16, v103
	v_add_f16_e32 v120, v107, v117
	v_fma_f16 v115, v115, -0.5, v103
	v_fma_f16 v120, v120, -0.5, v119
	v_sub_f16_e32 v121, v107, v117
	v_sub_f16_e32 v123, v118, v108
	v_fma_f16 v122, v121, s12, v115
	v_fma_f16 v124, v123, s13, v120
	v_pack_b32_f16 v122, v122, v124
	ds_write2_b32 v79, v112, v122 offset0:6 offset1:231
	v_fma_f16 v101, v101, s13, v116
	v_fma_f16 v106, v106, s12, v113
	;; [unrolled: 1-line block ×4, first 2 shown]
	v_pack_b32_f16 v106, v101, v106
	v_pack_b32_f16 v112, v112, v113
	v_add_u32_e32 v101, 0x2680, v57
	ds_write2_b32 v101, v106, v112 offset0:11 offset1:236
	v_lshrrev_b32_e32 v106, 16, v109
	s_waitcnt vmcnt(1)
	v_mul_f16_sdwa v112, v106, v54 dst_sel:DWORD dst_unused:UNUSED_PAD src0_sel:DWORD src1_sel:WORD_1
	v_fma_f16 v112, v109, v54, -v112
	v_mul_f16_sdwa v109, v109, v54 dst_sel:DWORD dst_unused:UNUSED_PAD src0_sel:DWORD src1_sel:WORD_1
	v_add_f16_e32 v103, v103, v118
	v_fma_f16 v106, v106, v54, v109
	v_add_f16_e32 v103, v103, v108
	s_waitcnt lgkmcnt(6)
	v_lshrrev_b32_e32 v108, 16, v110
	v_mul_f16_sdwa v109, v110, v53 dst_sel:DWORD dst_unused:UNUSED_PAD src0_sel:DWORD src1_sel:WORD_1
	v_fma_f16 v109, v108, v53, v109
	v_mul_f16_sdwa v108, v108, v53 dst_sel:DWORD dst_unused:UNUSED_PAD src0_sel:DWORD src1_sel:WORD_1
	v_add_f16_e32 v107, v119, v107
	v_fma_f16 v108, v110, v53, -v108
	v_add_f16_e32 v107, v107, v117
	v_add_f16_e32 v110, v108, v112
	v_lshrrev_b32_e32 v113, 16, v104
	v_fma_f16 v110, v110, -0.5, v104
	v_add_f16_e32 v104, v104, v108
	v_pack_b32_f16 v103, v103, v107
	v_add_f16_e32 v107, v113, v109
	v_add_f16_e32 v104, v104, v112
	;; [unrolled: 1-line block ×3, first 2 shown]
	v_pack_b32_f16 v104, v104, v107
	ds_write2_b32 v80, v103, v104 offset0:2 offset1:227
	v_lshrrev_b32_e32 v103, 16, v111
	v_sub_f16_e32 v108, v108, v112
	v_lshrrev_b32_e32 v112, 16, v105
	s_waitcnt vmcnt(0)
	v_mul_f16_sdwa v107, v111, v55 dst_sel:DWORD dst_unused:UNUSED_PAD src0_sel:DWORD src1_sel:WORD_1
	v_mul_f16_sdwa v104, v103, v55 dst_sel:DWORD dst_unused:UNUSED_PAD src0_sel:DWORD src1_sel:WORD_1
	v_fma_f16 v103, v103, v55, v107
	s_waitcnt lgkmcnt(4)
	v_lshrrev_b32_e32 v107, 16, v114
	v_fma_f16 v104, v111, v55, -v104
	v_mul_f16_sdwa v111, v107, v56 dst_sel:DWORD dst_unused:UNUSED_PAD src0_sel:DWORD src1_sel:WORD_1
	v_fma_f16 v111, v114, v56, -v111
	v_mul_f16_sdwa v114, v114, v56 dst_sel:DWORD dst_unused:UNUSED_PAD src0_sel:DWORD src1_sel:WORD_1
	v_fma_f16 v107, v107, v56, v114
	v_sub_f16_e32 v114, v109, v106
	v_add_f16_e32 v106, v109, v106
	v_fma_f16 v106, v106, -0.5, v113
	v_fma_f16 v109, v108, s13, v106
	v_fma_f16 v106, v108, s12, v106
	v_add_f16_e32 v108, v104, v111
	v_fma_f16 v108, v108, -0.5, v105
	v_add_f16_e32 v105, v105, v104
	v_add_f16_e32 v113, v112, v103
	v_fma_f16 v115, v114, s12, v110
	v_fma_f16 v110, v114, s13, v110
	v_add_f16_e32 v113, v113, v107
	v_sub_f16_e32 v114, v103, v107
	v_add_f16_e32 v103, v103, v107
	v_add_f16_e32 v105, v105, v111
	v_fma_f16 v103, v103, -0.5, v112
	v_sub_f16_e32 v104, v104, v111
	v_pack_b32_f16 v106, v110, v106
	v_pack_b32_f16 v105, v105, v113
	ds_write_b32 v57, v106 offset:11700
	ds_write_b32 v57, v105 offset:3600
	v_fma_f16 v105, v114, s12, v108
	v_fma_f16 v106, v104, s13, v103
	v_pack_b32_f16 v107, v115, v109
	v_pack_b32_f16 v105, v105, v106
	ds_write2_b32 v78, v107, v105 offset0:8 offset1:233
	v_fma_f16 v105, v114, s13, v108
	v_fma_f16 v103, v104, s12, v103
	v_pack_b32_f16 v103, v105, v103
	ds_write_b32 v57, v103 offset:12600
	s_waitcnt lgkmcnt(0)
	s_barrier
	global_load_dword v107, v[25:26], off offset:1212
	v_add_co_u32_e32 v25, vcc, s2, v81
	v_addc_co_u32_e32 v26, vcc, 0, v82, vcc
	global_load_dword v108, v[25:26], off offset:2700
	global_load_dword v109, v[25:26], off offset:3600
	s_movk_i32 s2, 0x5000
	v_add_co_u32_e32 v103, vcc, s2, v81
	v_addc_co_u32_e32 v104, vcc, 0, v82, vcc
	global_load_dword v110, v[103:104], off offset:1120
	global_load_dword v111, v[103:104], off offset:2020
	;; [unrolled: 1-line block ×3, first 2 shown]
	s_movk_i32 s2, 0x4000
	v_add_co_u32_e32 v105, vcc, s2, v81
	v_addc_co_u32_e32 v106, vcc, 0, v82, vcc
	global_load_dword v113, v[105:106], off offset:1616
	global_load_dword v114, v[105:106], off offset:2516
	global_load_dword v115, v[105:106], off offset:3416
	global_load_dword v116, v[25:26], off offset:1800
	ds_read2_b32 v[25:26], v57 offset1:225
	global_load_dword v117, v[103:104], off offset:2920
	global_load_dword v118, v[103:104], off offset:220
	s_movk_i32 s2, 0x6000
	v_add_co_u32_e32 v81, vcc, s2, v81
	s_waitcnt lgkmcnt(0)
	v_lshrrev_b32_e32 v105, 16, v25
	v_addc_co_u32_e32 v82, vcc, 0, v82, vcc
	s_mov_b32 s2, 0xf3de0748
	s_mov_b32 s3, 0x3f33698d
	s_waitcnt vmcnt(11)
	v_mul_f16_sdwa v106, v25, v107 dst_sel:DWORD dst_unused:UNUSED_PAD src0_sel:DWORD src1_sel:WORD_1
	v_fma_f16 v106, v105, v107, v106
	v_mul_f16_sdwa v105, v105, v107 dst_sel:DWORD dst_unused:UNUSED_PAD src0_sel:DWORD src1_sel:WORD_1
	v_fma_f16 v25, v25, v107, -v105
	v_pack_b32_f16 v25, v25, v106
	ds_write_b32 v57, v25
	ds_read2_b32 v[105:106], v80 offset0:2 offset1:227
	global_load_dword v119, v[81:82], off offset:1524
	global_load_dword v120, v[81:82], off offset:624
	global_load_dword v121, v[103:104], off offset:3820
	ds_read2_b32 v[81:82], v71 offset0:4 offset1:229
	s_waitcnt lgkmcnt(1)
	v_lshrrev_b32_e32 v25, 16, v106
	s_waitcnt vmcnt(13)
	v_mul_f16_sdwa v103, v106, v108 dst_sel:DWORD dst_unused:UNUSED_PAD src0_sel:DWORD src1_sel:WORD_1
	v_fma_f16 v103, v25, v108, v103
	v_mul_f16_sdwa v25, v25, v108 dst_sel:DWORD dst_unused:UNUSED_PAD src0_sel:DWORD src1_sel:WORD_1
	v_fma_f16 v25, v106, v108, -v25
	v_pack_b32_f16 v25, v25, v103
	s_waitcnt lgkmcnt(0)
	v_lshrrev_b32_e32 v103, 16, v81
	s_waitcnt vmcnt(12)
	v_mul_f16_sdwa v104, v81, v109 dst_sel:DWORD dst_unused:UNUSED_PAD src0_sel:DWORD src1_sel:WORD_1
	v_fma_f16 v106, v103, v109, v104
	v_mul_f16_sdwa v107, v103, v109 dst_sel:DWORD dst_unused:UNUSED_PAD src0_sel:DWORD src1_sel:WORD_1
	ds_read2_b32 v[103:104], v78 offset0:8 offset1:233
	v_fma_f16 v81, v81, v109, -v107
	v_pack_b32_f16 v81, v81, v106
	v_add_u32_e32 v106, 0xa80, v57
	ds_write2_b32 v106, v25, v81 offset0:3 offset1:228
	ds_read2_b32 v[106:107], v69 offset0:10 offset1:235
	s_waitcnt lgkmcnt(2)
	v_lshrrev_b32_e32 v25, 16, v104
	s_waitcnt vmcnt(11)
	v_mul_f16_sdwa v81, v104, v110 dst_sel:DWORD dst_unused:UNUSED_PAD src0_sel:DWORD src1_sel:WORD_1
	v_fma_f16 v81, v25, v110, v81
	v_mul_f16_sdwa v25, v25, v110 dst_sel:DWORD dst_unused:UNUSED_PAD src0_sel:DWORD src1_sel:WORD_1
	v_fma_f16 v25, v104, v110, -v25
	v_pack_b32_f16 v25, v25, v81
	s_waitcnt lgkmcnt(0)
	v_lshrrev_b32_e32 v81, 16, v106
	s_waitcnt vmcnt(10)
	v_mul_f16_sdwa v104, v106, v111 dst_sel:DWORD dst_unused:UNUSED_PAD src0_sel:DWORD src1_sel:WORD_1
	v_fma_f16 v104, v81, v111, v104
	v_mul_f16_sdwa v81, v81, v111 dst_sel:DWORD dst_unused:UNUSED_PAD src0_sel:DWORD src1_sel:WORD_1
	v_fma_f16 v81, v106, v111, -v81
	v_pack_b32_f16 v81, v81, v104
	v_add_u32_e32 v104, 0x1f80, v57
	ds_write2_b32 v104, v25, v81 offset0:9 offset1:234
	v_lshrrev_b32_e32 v25, 16, v26
	s_waitcnt vmcnt(9)
	v_mul_f16_sdwa v81, v25, v112 dst_sel:DWORD dst_unused:UNUSED_PAD src0_sel:DWORD src1_sel:WORD_1
	v_fma_f16 v81, v26, v112, -v81
	v_mul_f16_sdwa v26, v26, v112 dst_sel:DWORD dst_unused:UNUSED_PAD src0_sel:DWORD src1_sel:WORD_1
	v_fma_f16 v25, v25, v112, v26
	v_lshrrev_b32_e32 v26, 16, v105
	s_waitcnt vmcnt(5)
	v_mul_f16_sdwa v104, v26, v116 dst_sel:DWORD dst_unused:UNUSED_PAD src0_sel:DWORD src1_sel:WORD_1
	v_fma_f16 v104, v105, v116, -v104
	v_mul_f16_sdwa v105, v105, v116 dst_sel:DWORD dst_unused:UNUSED_PAD src0_sel:DWORD src1_sel:WORD_1
	v_fma_f16 v26, v26, v116, v105
	v_pack_b32_f16 v25, v81, v25
	v_pack_b32_f16 v26, v104, v26
	v_add_u32_e32 v81, 0x380, v57
	ds_write2_b32 v81, v25, v26 offset0:1 offset1:226
	ds_read2_b32 v[25:26], v79 offset0:6 offset1:231
	v_lshrrev_b32_e32 v81, 16, v82
	v_mul_f16_sdwa v104, v81, v113 dst_sel:DWORD dst_unused:UNUSED_PAD src0_sel:DWORD src1_sel:WORD_1
	v_fma_f16 v104, v82, v113, -v104
	v_mul_f16_sdwa v82, v82, v113 dst_sel:DWORD dst_unused:UNUSED_PAD src0_sel:DWORD src1_sel:WORD_1
	v_fma_f16 v81, v81, v113, v82
	s_waitcnt lgkmcnt(0)
	v_lshrrev_b32_e32 v82, 16, v25
	v_mul_f16_sdwa v105, v25, v114 dst_sel:DWORD dst_unused:UNUSED_PAD src0_sel:DWORD src1_sel:WORD_1
	v_fma_f16 v105, v82, v114, v105
	v_mul_f16_sdwa v82, v82, v114 dst_sel:DWORD dst_unused:UNUSED_PAD src0_sel:DWORD src1_sel:WORD_1
	v_fma_f16 v25, v25, v114, -v82
	v_pack_b32_f16 v25, v25, v105
	v_pack_b32_f16 v81, v104, v81
	v_add_u32_e32 v82, 0x1180, v57
	ds_write2_b32 v82, v81, v25 offset0:5 offset1:230
	v_lshrrev_b32_e32 v25, 16, v26
	v_mul_f16_sdwa v81, v25, v115 dst_sel:DWORD dst_unused:UNUSED_PAD src0_sel:DWORD src1_sel:WORD_1
	v_fma_f16 v81, v26, v115, -v81
	v_mul_f16_sdwa v26, v26, v115 dst_sel:DWORD dst_unused:UNUSED_PAD src0_sel:DWORD src1_sel:WORD_1
	v_fma_f16 v25, v25, v115, v26
	v_lshrrev_b32_e32 v26, 16, v103
	s_waitcnt vmcnt(3)
	v_mul_f16_sdwa v82, v26, v118 dst_sel:DWORD dst_unused:UNUSED_PAD src0_sel:DWORD src1_sel:WORD_1
	v_fma_f16 v82, v103, v118, -v82
	v_mul_f16_sdwa v103, v103, v118 dst_sel:DWORD dst_unused:UNUSED_PAD src0_sel:DWORD src1_sel:WORD_1
	v_fma_f16 v26, v26, v118, v103
	ds_read_b32 v104, v57 offset:12600
	v_pack_b32_f16 v25, v81, v25
	v_pack_b32_f16 v26, v82, v26
	ds_write2_b32 v84, v25, v26 offset0:7 offset1:232
	ds_read2_b32 v[25:26], v76 offset0:12 offset1:237
	s_waitcnt lgkmcnt(2)
	v_lshrrev_b32_e32 v81, 16, v104
	s_waitcnt vmcnt(2)
	v_mul_f16_sdwa v84, v104, v119 dst_sel:DWORD dst_unused:UNUSED_PAD src0_sel:DWORD src1_sel:WORD_1
	v_mul_f16_sdwa v82, v81, v119 dst_sel:DWORD dst_unused:UNUSED_PAD src0_sel:DWORD src1_sel:WORD_1
	v_fma_f16 v81, v81, v119, v84
	s_waitcnt lgkmcnt(0)
	v_lshrrev_b32_e32 v84, 16, v26
	s_waitcnt vmcnt(1)
	v_mul_f16_sdwa v103, v26, v120 dst_sel:DWORD dst_unused:UNUSED_PAD src0_sel:DWORD src1_sel:WORD_1
	v_fma_f16 v103, v84, v120, v103
	v_mul_f16_sdwa v84, v84, v120 dst_sel:DWORD dst_unused:UNUSED_PAD src0_sel:DWORD src1_sel:WORD_1
	v_fma_f16 v82, v104, v119, -v82
	v_fma_f16 v26, v26, v120, -v84
	v_pack_b32_f16 v26, v26, v103
	v_pack_b32_f16 v81, v82, v81
	ds_write2_b32 v85, v26, v81 offset0:13 offset1:238
	v_lshrrev_b32_e32 v26, 16, v25
	s_waitcnt vmcnt(0)
	v_mul_f16_sdwa v81, v26, v121 dst_sel:DWORD dst_unused:UNUSED_PAD src0_sel:DWORD src1_sel:WORD_1
	v_fma_f16 v81, v25, v121, -v81
	v_mul_f16_sdwa v25, v25, v121 dst_sel:DWORD dst_unused:UNUSED_PAD src0_sel:DWORD src1_sel:WORD_1
	v_fma_f16 v25, v26, v121, v25
	v_lshrrev_b32_e32 v26, 16, v107
	v_mul_f16_sdwa v82, v26, v117 dst_sel:DWORD dst_unused:UNUSED_PAD src0_sel:DWORD src1_sel:WORD_1
	v_mul_f16_sdwa v84, v107, v117 dst_sel:DWORD dst_unused:UNUSED_PAD src0_sel:DWORD src1_sel:WORD_1
	v_fma_f16 v82, v107, v117, -v82
	v_fma_f16 v26, v26, v117, v84
	v_pack_b32_f16 v25, v81, v25
	v_pack_b32_f16 v26, v82, v26
	ds_write2_b32 v101, v26, v25 offset0:11 offset1:236
	s_waitcnt lgkmcnt(0)
	s_barrier
	ds_read2_b32 v[25:26], v79 offset0:6 offset1:231
	ds_read2_b32 v[81:82], v80 offset0:2 offset1:227
	;; [unrolled: 1-line block ×4, first 2 shown]
	ds_read2_b32 v[105:106], v57 offset1:225
	s_waitcnt lgkmcnt(3)
	v_pk_add_f16 v107, v82, v25 neg_lo:[0,1] neg_hi:[0,1]
	s_waitcnt lgkmcnt(2)
	v_pk_add_f16 v112, v82, v84 neg_lo:[0,1] neg_hi:[0,1]
	;; [unrolled: 2-line block ×3, first 2 shown]
	v_pk_add_f16 v111, v107, v108
	v_pk_add_f16 v107, v25, v104
	s_waitcnt lgkmcnt(0)
	v_pk_fma_f16 v107, v107, 0.5, v105 op_sel_hi:[1,0,1] neg_lo:[1,0,0] neg_hi:[1,0,0]
	v_pk_mul_f16 v108, v112, s0 op_sel_hi:[1,0]
	v_pk_add_f16 v113, v25, v104 neg_lo:[0,1] neg_hi:[0,1]
	v_pk_add_f16 v109, v107, v108 op_sel:[0,1] op_sel_hi:[1,0] neg_lo:[0,1] neg_hi:[0,1]
	v_pk_add_f16 v107, v107, v108 op_sel:[0,1] op_sel_hi:[1,0]
	v_pk_mul_f16 v108, v113, s1 op_sel_hi:[1,0]
	v_pk_add_f16 v115, v107, v108 op_sel:[0,1] op_sel_hi:[1,0]
	v_pk_add_f16 v107, v105, v82
	v_pk_add_f16 v107, v107, v25
	;; [unrolled: 1-line block ×3, first 2 shown]
	v_pk_add_f16 v25, v25, v82 neg_lo:[0,1] neg_hi:[0,1]
	v_pk_add_f16 v82, v82, v84
	v_pk_add_f16 v116, v107, v84
	v_pk_add_f16 v104, v104, v84 neg_lo:[0,1] neg_hi:[0,1]
	v_pk_fma_f16 v82, v82, 0.5, v105 op_sel_hi:[1,0,1] neg_lo:[1,0,0] neg_hi:[1,0,0]
	v_pk_mul_f16 v84, v113, s0 op_sel_hi:[1,0]
	v_pk_add_f16 v114, v109, v108 op_sel:[0,1] op_sel_hi:[1,0] neg_lo:[0,1] neg_hi:[0,1]
	ds_read_b32 v117, v57 offset:12600
	ds_read2_b32 v[107:108], v71 offset0:4 offset1:229
	ds_read2_b32 v[109:110], v69 offset0:10 offset1:235
	v_pk_add_f16 v25, v25, v104
	v_pk_add_f16 v104, v82, v84 op_sel:[0,1] op_sel_hi:[1,0]
	v_pk_add_f16 v82, v82, v84 op_sel:[0,1] op_sel_hi:[1,0] neg_lo:[0,1] neg_hi:[0,1]
	v_pk_mul_f16 v84, v112, s1 op_sel_hi:[1,0]
	v_pk_add_f16 v104, v104, v84 op_sel:[0,1] op_sel_hi:[1,0] neg_lo:[0,1] neg_hi:[0,1]
	v_pk_add_f16 v82, v82, v84 op_sel:[0,1] op_sel_hi:[1,0]
	v_bfi_b32 v84, s7, v104, v82
	v_bfi_b32 v82, s7, v82, v104
	v_pk_fma_f16 v84, v25, s6, v84 op_sel_hi:[1,0,1]
	v_pk_fma_f16 v25, v25, s6, v82 op_sel_hi:[1,0,1]
	s_waitcnt lgkmcnt(0)
	s_barrier
	ds_write2_b32 v83, v84, v25 offset0:2 offset1:3
	v_bfi_b32 v25, s7, v115, v114
	v_pk_fma_f16 v25, v111, s6, v25 op_sel_hi:[1,0,1]
	v_pk_add_f16 v84, v107, v26 neg_lo:[0,1] neg_hi:[0,1]
	v_pk_add_f16 v104, v85, v109 neg_lo:[0,1] neg_hi:[0,1]
	v_bfi_b32 v118, s7, v114, v115
	ds_write_b32 v83, v25 offset:16
	v_pk_add_f16 v25, v26, v109
	v_pk_add_f16 v84, v84, v104
	v_pk_add_f16 v104, v107, v85 neg_lo:[0,1] neg_hi:[0,1]
	v_pk_fma_f16 v118, v111, s6, v118 op_sel_hi:[1,0,1]
	v_pk_fma_f16 v25, v25, 0.5, v106 op_sel_hi:[1,0,1] neg_lo:[1,0,0] neg_hi:[1,0,0]
	v_pk_add_f16 v82, v107, v85
	v_pk_mul_f16 v105, v104, s0 op_sel_hi:[1,0]
	ds_write2_b32 v83, v116, v118 offset1:1
	v_pk_fma_f16 v82, v82, 0.5, v106 op_sel_hi:[1,0,1] neg_lo:[1,0,0] neg_hi:[1,0,0]
	v_pk_add_f16 v83, v106, v107
	v_pk_add_f16 v106, v25, v105 op_sel:[0,1] op_sel_hi:[1,0] neg_lo:[0,1] neg_hi:[0,1]
	v_pk_add_f16 v25, v25, v105 op_sel:[0,1] op_sel_hi:[1,0]
	v_pk_add_f16 v105, v26, v109 neg_lo:[0,1] neg_hi:[0,1]
	v_pk_mul_f16 v111, v105, s1 op_sel_hi:[1,0]
	v_pk_add_f16 v106, v106, v111 op_sel:[0,1] op_sel_hi:[1,0] neg_lo:[0,1] neg_hi:[0,1]
	v_pk_add_f16 v25, v25, v111 op_sel:[0,1] op_sel_hi:[1,0]
	v_pk_add_f16 v83, v83, v26
	v_pk_add_f16 v83, v83, v109
	v_bfi_b32 v111, s7, v106, v25
	v_pk_add_f16 v83, v83, v85
	v_pk_fma_f16 v111, v84, s6, v111 op_sel_hi:[1,0,1]
	ds_write2_b32 v102, v83, v111 offset1:1
	v_pk_add_f16 v26, v26, v107 neg_lo:[0,1] neg_hi:[0,1]
	v_pk_add_f16 v83, v109, v85 neg_lo:[0,1] neg_hi:[0,1]
	v_pk_add_f16 v26, v26, v83
	v_pk_mul_f16 v83, v105, s0 op_sel_hi:[1,0]
	v_pk_add_f16 v85, v82, v83 op_sel:[0,1] op_sel_hi:[1,0]
	v_pk_add_f16 v82, v82, v83 op_sel:[0,1] op_sel_hi:[1,0] neg_lo:[0,1] neg_hi:[0,1]
	v_pk_mul_f16 v83, v104, s1 op_sel_hi:[1,0]
	v_pk_add_f16 v85, v85, v83 op_sel:[0,1] op_sel_hi:[1,0] neg_lo:[0,1] neg_hi:[0,1]
	v_pk_add_f16 v82, v82, v83 op_sel:[0,1] op_sel_hi:[1,0]
	v_bfi_b32 v83, s7, v85, v82
	v_bfi_b32 v82, s7, v82, v85
	;; [unrolled: 1-line block ×3, first 2 shown]
	v_pk_fma_f16 v83, v26, s6, v83 op_sel_hi:[1,0,1]
	v_pk_fma_f16 v26, v26, s6, v82 op_sel_hi:[1,0,1]
	v_pk_fma_f16 v25, v84, s6, v25 op_sel_hi:[1,0,1]
	ds_write2_b32 v102, v83, v26 offset0:2 offset1:3
	ds_write_b32 v102, v25 offset:16
	v_pk_add_f16 v25, v108, v103 neg_lo:[0,1] neg_hi:[0,1]
	v_pk_add_f16 v26, v117, v110 neg_lo:[0,1] neg_hi:[0,1]
	v_pk_add_f16 v25, v25, v26
	v_pk_add_f16 v26, v103, v110
	v_pk_add_f16 v82, v108, v117 neg_lo:[0,1] neg_hi:[0,1]
	v_pk_fma_f16 v26, v26, 0.5, v81 op_sel_hi:[1,0,1] neg_lo:[1,0,0] neg_hi:[1,0,0]
	v_pk_mul_f16 v83, v82, s0 op_sel_hi:[1,0]
	v_pk_add_f16 v84, v26, v83 op_sel:[0,1] op_sel_hi:[1,0] neg_lo:[0,1] neg_hi:[0,1]
	v_pk_add_f16 v26, v26, v83 op_sel:[0,1] op_sel_hi:[1,0]
	v_pk_add_f16 v83, v103, v110 neg_lo:[0,1] neg_hi:[0,1]
	v_pk_mul_f16 v85, v83, s1 op_sel_hi:[1,0]
	v_pk_add_f16 v84, v84, v85 op_sel:[0,1] op_sel_hi:[1,0] neg_lo:[0,1] neg_hi:[0,1]
	v_pk_add_f16 v26, v26, v85 op_sel:[0,1] op_sel_hi:[1,0]
	v_pk_add_f16 v85, v81, v108
	v_pk_add_f16 v85, v85, v103
	;; [unrolled: 1-line block ×3, first 2 shown]
	v_bfi_b32 v102, s7, v84, v26
	v_pk_add_f16 v85, v85, v117
	v_pk_fma_f16 v102, v25, s6, v102 op_sel_hi:[1,0,1]
	ds_write2_b32 v100, v85, v102 offset1:1
	v_pk_add_f16 v102, v108, v117
	v_pk_add_f16 v85, v103, v108 neg_lo:[0,1] neg_hi:[0,1]
	v_pk_fma_f16 v81, v102, 0.5, v81 op_sel_hi:[1,0,1] neg_lo:[1,0,0] neg_hi:[1,0,0]
	v_pk_add_f16 v102, v110, v117 neg_lo:[0,1] neg_hi:[0,1]
	v_pk_mul_f16 v83, v83, s0 op_sel_hi:[1,0]
	v_pk_add_f16 v85, v85, v102
	v_pk_add_f16 v102, v81, v83 op_sel:[0,1] op_sel_hi:[1,0]
	v_pk_add_f16 v81, v81, v83 op_sel:[0,1] op_sel_hi:[1,0] neg_lo:[0,1] neg_hi:[0,1]
	v_pk_mul_f16 v82, v82, s1 op_sel_hi:[1,0]
	v_pk_add_f16 v83, v102, v82 op_sel:[0,1] op_sel_hi:[1,0] neg_lo:[0,1] neg_hi:[0,1]
	v_pk_add_f16 v81, v81, v82 op_sel:[0,1] op_sel_hi:[1,0]
	v_bfi_b32 v82, s7, v83, v81
	v_bfi_b32 v81, s7, v81, v83
	;; [unrolled: 1-line block ×3, first 2 shown]
	v_pk_fma_f16 v82, v85, s6, v82 op_sel_hi:[1,0,1]
	v_pk_fma_f16 v81, v85, s6, v81 op_sel_hi:[1,0,1]
	;; [unrolled: 1-line block ×3, first 2 shown]
	ds_write2_b32 v100, v82, v81 offset0:2 offset1:3
	ds_write_b32 v100, v25 offset:16
	s_waitcnt lgkmcnt(0)
	s_barrier
	ds_read2_b32 v[25:26], v71 offset0:4 offset1:229
	ds_read2_b32 v[81:82], v79 offset0:6 offset1:231
	s_movk_i32 s7, 0xffe
	s_waitcnt lgkmcnt(1)
	v_lshrrev_b32_e32 v83, 16, v25
	v_mul_f16_sdwa v84, v16, v25 dst_sel:DWORD dst_unused:UNUSED_PAD src0_sel:WORD_1 src1_sel:DWORD
	v_fma_f16 v85, v16, v83, -v84
	v_mul_f16_sdwa v83, v16, v83 dst_sel:DWORD dst_unused:UNUSED_PAD src0_sel:WORD_1 src1_sel:DWORD
	v_fma_f16 v25, v16, v25, v83
	s_waitcnt lgkmcnt(0)
	v_lshrrev_b32_e32 v16, 16, v82
	ds_read2_b32 v[83:84], v69 offset0:10 offset1:235
	v_mul_f16_sdwa v100, v17, v82 dst_sel:DWORD dst_unused:UNUSED_PAD src0_sel:WORD_1 src1_sel:DWORD
	v_fma_f16 v100, v17, v16, -v100
	v_mul_f16_sdwa v16, v17, v16 dst_sel:DWORD dst_unused:UNUSED_PAD src0_sel:WORD_1 src1_sel:DWORD
	v_fma_f16 v82, v17, v82, v16
	ds_read2_b32 v[16:17], v76 offset0:12 offset1:237
	s_waitcnt lgkmcnt(1)
	v_lshrrev_b32_e32 v102, 16, v83
	v_mul_f16_sdwa v103, v18, v83 dst_sel:DWORD dst_unused:UNUSED_PAD src0_sel:WORD_1 src1_sel:DWORD
	v_fma_f16 v103, v18, v102, -v103
	v_mul_f16_sdwa v102, v18, v102 dst_sel:DWORD dst_unused:UNUSED_PAD src0_sel:WORD_1 src1_sel:DWORD
	v_fma_f16 v83, v18, v83, v102
	s_waitcnt lgkmcnt(0)
	v_lshrrev_b32_e32 v18, 16, v17
	v_mul_f16_sdwa v102, v19, v17 dst_sel:DWORD dst_unused:UNUSED_PAD src0_sel:WORD_1 src1_sel:DWORD
	v_fma_f16 v102, v19, v18, -v102
	v_mul_f16_sdwa v18, v19, v18 dst_sel:DWORD dst_unused:UNUSED_PAD src0_sel:WORD_1 src1_sel:DWORD
	v_fma_f16 v19, v19, v17, v18
	v_lshrrev_b32_e32 v17, 16, v26
	v_mul_f16_sdwa v18, v20, v17 dst_sel:DWORD dst_unused:UNUSED_PAD src0_sel:WORD_1 src1_sel:DWORD
	v_fma_f16 v104, v20, v26, v18
	v_mul_f16_sdwa v18, v20, v26 dst_sel:DWORD dst_unused:UNUSED_PAD src0_sel:WORD_1 src1_sel:DWORD
	v_fma_f16 v20, v20, v17, -v18
	v_lshrrev_b32_e32 v17, 16, v84
	ds_read_b32 v26, v57 offset:12600
	v_mul_f16_sdwa v18, v22, v17 dst_sel:DWORD dst_unused:UNUSED_PAD src0_sel:WORD_1 src1_sel:DWORD
	v_fma_f16 v105, v22, v84, v18
	v_mul_f16_sdwa v18, v22, v84 dst_sel:DWORD dst_unused:UNUSED_PAD src0_sel:WORD_1 src1_sel:DWORD
	v_fma_f16 v22, v22, v17, -v18
	ds_read2_b32 v[17:18], v78 offset0:8 offset1:233
	s_waitcnt lgkmcnt(1)
	v_lshrrev_b32_e32 v84, 16, v26
	v_mul_f16_sdwa v106, v23, v84 dst_sel:DWORD dst_unused:UNUSED_PAD src0_sel:WORD_1 src1_sel:DWORD
	v_fma_f16 v106, v23, v26, v106
	v_mul_f16_sdwa v26, v23, v26 dst_sel:DWORD dst_unused:UNUSED_PAD src0_sel:WORD_1 src1_sel:DWORD
	v_fma_f16 v23, v23, v84, -v26
	s_waitcnt lgkmcnt(0)
	v_lshrrev_b32_e32 v26, 16, v17
	v_mul_f16_sdwa v84, v21, v17 dst_sel:DWORD dst_unused:UNUSED_PAD src0_sel:WORD_1 src1_sel:DWORD
	v_fma_f16 v84, v21, v26, -v84
	v_mul_f16_sdwa v26, v21, v26 dst_sel:DWORD dst_unused:UNUSED_PAD src0_sel:WORD_1 src1_sel:DWORD
	v_fma_f16 v17, v21, v17, v26
	v_lshrrev_b32_e32 v21, 16, v81
	v_mul_f16_sdwa v26, v13, v21 dst_sel:DWORD dst_unused:UNUSED_PAD src0_sel:WORD_1 src1_sel:DWORD
	v_fma_f16 v26, v13, v81, v26
	v_mul_f16_sdwa v81, v13, v81 dst_sel:DWORD dst_unused:UNUSED_PAD src0_sel:WORD_1 src1_sel:DWORD
	v_fma_f16 v21, v13, v21, -v81
	v_lshrrev_b32_e32 v13, 16, v18
	v_mul_f16_sdwa v81, v14, v13 dst_sel:DWORD dst_unused:UNUSED_PAD src0_sel:WORD_1 src1_sel:DWORD
	v_fma_f16 v81, v14, v18, v81
	v_mul_f16_sdwa v18, v14, v18 dst_sel:DWORD dst_unused:UNUSED_PAD src0_sel:WORD_1 src1_sel:DWORD
	v_fma_f16 v18, v14, v13, -v18
	ds_read2_b32 v[13:14], v80 offset0:2 offset1:227
	v_lshrrev_b32_e32 v107, 16, v16
	v_mul_f16_sdwa v108, v15, v107 dst_sel:DWORD dst_unused:UNUSED_PAD src0_sel:WORD_1 src1_sel:DWORD
	v_fma_f16 v108, v15, v16, v108
	v_mul_f16_sdwa v16, v15, v16 dst_sel:DWORD dst_unused:UNUSED_PAD src0_sel:WORD_1 src1_sel:DWORD
	v_fma_f16 v16, v15, v107, -v16
	s_waitcnt lgkmcnt(0)
	v_lshrrev_b32_e32 v15, 16, v14
	v_mul_f16_sdwa v107, v12, v14 dst_sel:DWORD dst_unused:UNUSED_PAD src0_sel:WORD_1 src1_sel:DWORD
	v_fma_f16 v107, v12, v15, -v107
	v_mul_f16_sdwa v15, v12, v15 dst_sel:DWORD dst_unused:UNUSED_PAD src0_sel:WORD_1 src1_sel:DWORD
	v_fma_f16 v12, v12, v14, v15
	ds_read2_b32 v[14:15], v57 offset1:225
	v_sub_f16_e32 v109, v12, v26
	v_sub_f16_e32 v110, v108, v81
	v_add_f16_e32 v109, v109, v110
	v_sub_f16_e32 v110, v107, v21
	v_sub_f16_e32 v111, v16, v18
	s_waitcnt lgkmcnt(0)
	v_lshrrev_b32_e32 v112, 16, v14
	v_add_f16_e32 v110, v110, v111
	v_add_f16_e32 v111, v14, v12
	;; [unrolled: 1-line block ×9, first 2 shown]
	v_pack_b32_f16 v111, v111, v113
	v_add_f16_e32 v113, v26, v81
	v_sub_f16_e32 v118, v12, v108
	v_sub_f16_e32 v120, v26, v81
	v_sub_f16_e32 v26, v26, v12
	v_add_f16_e32 v12, v12, v108
	v_sub_f16_e32 v116, v21, v18
	v_fma_f16 v12, v12, -0.5, v14
	v_fma_f16 v113, v113, -0.5, v14
	v_sub_f16_e32 v114, v107, v16
	v_sub_f16_e32 v81, v81, v108
	v_fma_f16 v14, v116, s0, v12
	v_fma_f16 v12, v116, s15, v12
	v_add_f16_e32 v26, v26, v81
	v_fma_f16 v14, v114, s16, v14
	v_fma_f16 v12, v114, s1, v12
	;; [unrolled: 1-line block ×4, first 2 shown]
	v_add_f16_e32 v26, v107, v16
	v_add_f16_e32 v117, v21, v18
	v_fma_f16 v26, v26, -0.5, v112
	v_sub_f16_e32 v21, v21, v107
	v_sub_f16_e32 v16, v18, v16
	v_add_f16_e32 v16, v21, v16
	v_fma_f16 v18, v120, s15, v26
	v_fma_f16 v21, v120, s0, v26
	;; [unrolled: 1-line block ×6, first 2 shown]
	v_fma_f16 v117, v117, -0.5, v112
	v_pack_b32_f16 v14, v14, v18
	v_pack_b32_f16 v12, v12, v16
	s_barrier
	ds_write2_b32 v95, v14, v12 offset0:10 offset1:15
	v_fma_f16 v12, v114, s0, v113
	v_fma_f16 v14, v118, s15, v117
	;; [unrolled: 1-line block ×6, first 2 shown]
	v_pack_b32_f16 v12, v12, v14
	v_sub_f16_e32 v18, v25, v82
	v_sub_f16_e32 v21, v19, v83
	ds_write_b32 v95, v12 offset:80
	v_add_f16_e32 v12, v82, v83
	v_add_f16_e32 v14, v25, v19
	v_lshrrev_b32_e32 v16, 16, v15
	v_add_f16_e32 v18, v18, v21
	v_sub_f16_e32 v21, v85, v100
	v_sub_f16_e32 v26, v102, v103
	v_fma_f16 v12, v12, -0.5, v15
	v_fma_f16 v14, v14, -0.5, v15
	v_add_f16_e32 v15, v15, v25
	v_add_f16_e32 v21, v21, v26
	;; [unrolled: 1-line block ×3, first 2 shown]
	v_fma_f16 v115, v114, s15, v113
	v_fma_f16 v119, v118, s0, v117
	v_add_f16_e32 v15, v15, v82
	v_add_f16_e32 v26, v26, v100
	v_fma_f16 v115, v116, s16, v115
	v_fma_f16 v119, v120, s1, v119
	v_add_f16_e32 v15, v15, v83
	v_add_f16_e32 v26, v26, v103
	;; [unrolled: 4-line block ×3, first 2 shown]
	v_add_f16_e32 v107, v100, v103
	v_pack_b32_f16 v115, v115, v119
	v_pack_b32_f16 v15, v15, v26
	v_sub_f16_e32 v26, v85, v102
	v_fma_f16 v107, v107, -0.5, v16
	v_sub_f16_e32 v108, v25, v19
	ds_write2_b32 v95, v111, v115 offset1:5
	v_fma_f16 v81, v26, s15, v12
	v_sub_f16_e32 v95, v100, v103
	v_fma_f16 v109, v108, s0, v107
	v_sub_f16_e32 v110, v82, v83
	v_fma_f16 v81, v95, s16, v81
	v_fma_f16 v109, v110, s1, v109
	;; [unrolled: 1-line block ×4, first 2 shown]
	v_pack_b32_f16 v81, v81, v109
	ds_write2_b32 v98, v15, v81 offset1:5
	v_sub_f16_e32 v15, v82, v25
	v_sub_f16_e32 v19, v83, v19
	v_add_f16_e32 v15, v15, v19
	v_fma_f16 v19, v95, s0, v14
	v_fma_f16 v14, v95, s15, v14
	;; [unrolled: 1-line block ×6, first 2 shown]
	v_add_f16_e32 v15, v85, v102
	v_fma_f16 v15, v15, -0.5, v16
	v_sub_f16_e32 v16, v100, v85
	v_sub_f16_e32 v25, v103, v102
	v_add_f16_e32 v16, v16, v25
	v_fma_f16 v25, v110, s15, v15
	v_fma_f16 v15, v110, s0, v15
	;; [unrolled: 1-line block ×6, first 2 shown]
	v_pack_b32_f16 v16, v19, v25
	v_pack_b32_f16 v14, v14, v15
	ds_write2_b32 v98, v16, v14 offset0:10 offset1:15
	v_fma_f16 v12, v26, s0, v12
	v_fma_f16 v14, v108, s15, v107
	;; [unrolled: 1-line block ×6, first 2 shown]
	v_pack_b32_f16 v12, v12, v14
	v_sub_f16_e32 v16, v104, v17
	v_sub_f16_e32 v18, v106, v105
	ds_write_b32 v98, v12 offset:80
	v_add_f16_e32 v12, v17, v105
	v_add_f16_e32 v14, v104, v106
	v_lshrrev_b32_e32 v15, 16, v13
	v_add_f16_e32 v16, v16, v18
	v_sub_f16_e32 v18, v20, v84
	v_sub_f16_e32 v19, v23, v22
	v_fma_f16 v12, v12, -0.5, v13
	v_fma_f16 v14, v14, -0.5, v13
	v_add_f16_e32 v13, v13, v104
	v_add_f16_e32 v18, v18, v19
	;; [unrolled: 1-line block ×10, first 2 shown]
	v_pack_b32_f16 v13, v13, v19
	v_sub_f16_e32 v19, v20, v23
	v_fma_f16 v26, v26, -0.5, v15
	v_sub_f16_e32 v81, v104, v106
	v_fma_f16 v21, v19, s15, v12
	v_sub_f16_e32 v25, v84, v22
	v_fma_f16 v82, v81, s0, v26
	;; [unrolled: 2-line block ×3, first 2 shown]
	v_fma_f16 v82, v83, s1, v82
	v_fma_f16 v21, v16, s6, v21
	;; [unrolled: 1-line block ×3, first 2 shown]
	v_pack_b32_f16 v21, v21, v82
	ds_write2_b32 v99, v13, v21 offset1:5
	v_sub_f16_e32 v13, v17, v104
	v_sub_f16_e32 v17, v105, v106
	v_add_f16_e32 v13, v13, v17
	v_fma_f16 v17, v25, s0, v14
	v_fma_f16 v14, v25, s15, v14
	;; [unrolled: 1-line block ×6, first 2 shown]
	v_add_f16_e32 v14, v20, v23
	v_fma_f16 v14, v14, -0.5, v15
	v_sub_f16_e32 v15, v84, v20
	v_sub_f16_e32 v20, v22, v23
	v_add_f16_e32 v15, v15, v20
	v_fma_f16 v20, v83, s15, v14
	v_fma_f16 v14, v83, s0, v14
	;; [unrolled: 1-line block ×6, first 2 shown]
	v_pack_b32_f16 v15, v17, v20
	v_pack_b32_f16 v13, v13, v14
	ds_write2_b32 v99, v15, v13 offset0:10 offset1:15
	v_fma_f16 v12, v19, s0, v12
	v_fma_f16 v13, v81, s15, v26
	;; [unrolled: 1-line block ×6, first 2 shown]
	v_pack_b32_f16 v12, v12, v13
	ds_write_b32 v99, v12 offset:80
	s_waitcnt lgkmcnt(0)
	s_barrier
	ds_read2_b32 v[12:13], v71 offset0:4 offset1:229
	ds_read2_b32 v[14:15], v79 offset0:6 offset1:231
	s_waitcnt lgkmcnt(1)
	v_lshrrev_b32_e32 v16, 16, v12
	v_mul_f16_sdwa v17, v4, v12 dst_sel:DWORD dst_unused:UNUSED_PAD src0_sel:WORD_1 src1_sel:DWORD
	v_fma_f16 v18, v4, v16, -v17
	v_mul_f16_sdwa v16, v4, v16 dst_sel:DWORD dst_unused:UNUSED_PAD src0_sel:WORD_1 src1_sel:DWORD
	v_fma_f16 v12, v4, v12, v16
	s_waitcnt lgkmcnt(0)
	v_lshrrev_b32_e32 v4, 16, v15
	ds_read2_b32 v[16:17], v69 offset0:10 offset1:235
	v_mul_f16_sdwa v19, v5, v15 dst_sel:DWORD dst_unused:UNUSED_PAD src0_sel:WORD_1 src1_sel:DWORD
	v_fma_f16 v19, v5, v4, -v19
	v_mul_f16_sdwa v4, v5, v4 dst_sel:DWORD dst_unused:UNUSED_PAD src0_sel:WORD_1 src1_sel:DWORD
	v_fma_f16 v15, v5, v15, v4
	ds_read2_b32 v[4:5], v76 offset0:12 offset1:237
	s_waitcnt lgkmcnt(1)
	v_lshrrev_b32_e32 v20, 16, v16
	v_mul_f16_sdwa v21, v6, v16 dst_sel:DWORD dst_unused:UNUSED_PAD src0_sel:WORD_1 src1_sel:DWORD
	v_fma_f16 v21, v6, v20, -v21
	v_mul_f16_sdwa v20, v6, v20 dst_sel:DWORD dst_unused:UNUSED_PAD src0_sel:WORD_1 src1_sel:DWORD
	v_fma_f16 v16, v6, v16, v20
	s_waitcnt lgkmcnt(0)
	v_lshrrev_b32_e32 v6, 16, v5
	v_mul_f16_sdwa v20, v7, v5 dst_sel:DWORD dst_unused:UNUSED_PAD src0_sel:WORD_1 src1_sel:DWORD
	v_fma_f16 v20, v7, v6, -v20
	v_mul_f16_sdwa v6, v7, v6 dst_sel:DWORD dst_unused:UNUSED_PAD src0_sel:WORD_1 src1_sel:DWORD
	v_fma_f16 v7, v7, v5, v6
	v_lshrrev_b32_e32 v5, 16, v13
	v_mul_f16_sdwa v6, v8, v5 dst_sel:DWORD dst_unused:UNUSED_PAD src0_sel:WORD_1 src1_sel:DWORD
	v_fma_f16 v22, v8, v13, v6
	v_mul_f16_sdwa v6, v8, v13 dst_sel:DWORD dst_unused:UNUSED_PAD src0_sel:WORD_1 src1_sel:DWORD
	v_fma_f16 v8, v8, v5, -v6
	v_lshrrev_b32_e32 v5, 16, v17
	ds_read_b32 v13, v57 offset:12600
	v_mul_f16_sdwa v6, v10, v5 dst_sel:DWORD dst_unused:UNUSED_PAD src0_sel:WORD_1 src1_sel:DWORD
	v_fma_f16 v23, v10, v17, v6
	v_mul_f16_sdwa v6, v10, v17 dst_sel:DWORD dst_unused:UNUSED_PAD src0_sel:WORD_1 src1_sel:DWORD
	v_fma_f16 v10, v10, v5, -v6
	ds_read2_b32 v[5:6], v78 offset0:8 offset1:233
	s_waitcnt lgkmcnt(1)
	v_lshrrev_b32_e32 v17, 16, v13
	v_mul_f16_sdwa v25, v11, v17 dst_sel:DWORD dst_unused:UNUSED_PAD src0_sel:WORD_1 src1_sel:DWORD
	v_fma_f16 v25, v11, v13, v25
	v_mul_f16_sdwa v13, v11, v13 dst_sel:DWORD dst_unused:UNUSED_PAD src0_sel:WORD_1 src1_sel:DWORD
	v_fma_f16 v11, v11, v17, -v13
	s_waitcnt lgkmcnt(0)
	v_lshrrev_b32_e32 v13, 16, v5
	v_mul_f16_sdwa v17, v9, v5 dst_sel:DWORD dst_unused:UNUSED_PAD src0_sel:WORD_1 src1_sel:DWORD
	v_fma_f16 v17, v9, v13, -v17
	v_mul_f16_sdwa v13, v9, v13 dst_sel:DWORD dst_unused:UNUSED_PAD src0_sel:WORD_1 src1_sel:DWORD
	v_fma_f16 v5, v9, v5, v13
	v_lshrrev_b32_e32 v9, 16, v14
	v_mul_f16_sdwa v13, v1, v9 dst_sel:DWORD dst_unused:UNUSED_PAD src0_sel:WORD_1 src1_sel:DWORD
	v_fma_f16 v13, v1, v14, v13
	v_mul_f16_sdwa v14, v1, v14 dst_sel:DWORD dst_unused:UNUSED_PAD src0_sel:WORD_1 src1_sel:DWORD
	v_fma_f16 v9, v1, v9, -v14
	v_lshrrev_b32_e32 v1, 16, v6
	v_mul_f16_sdwa v14, v2, v1 dst_sel:DWORD dst_unused:UNUSED_PAD src0_sel:WORD_1 src1_sel:DWORD
	v_fma_f16 v14, v2, v6, v14
	v_mul_f16_sdwa v6, v2, v6 dst_sel:DWORD dst_unused:UNUSED_PAD src0_sel:WORD_1 src1_sel:DWORD
	v_fma_f16 v6, v2, v1, -v6
	ds_read2_b32 v[1:2], v80 offset0:2 offset1:227
	v_lshrrev_b32_e32 v26, 16, v4
	v_mul_f16_sdwa v81, v3, v26 dst_sel:DWORD dst_unused:UNUSED_PAD src0_sel:WORD_1 src1_sel:DWORD
	v_fma_f16 v81, v3, v4, v81
	v_mul_f16_sdwa v4, v3, v4 dst_sel:DWORD dst_unused:UNUSED_PAD src0_sel:WORD_1 src1_sel:DWORD
	v_fma_f16 v4, v3, v26, -v4
	s_waitcnt lgkmcnt(0)
	v_lshrrev_b32_e32 v3, 16, v2
	v_mul_f16_sdwa v26, v0, v2 dst_sel:DWORD dst_unused:UNUSED_PAD src0_sel:WORD_1 src1_sel:DWORD
	v_fma_f16 v26, v0, v3, -v26
	v_mul_f16_sdwa v3, v0, v3 dst_sel:DWORD dst_unused:UNUSED_PAD src0_sel:WORD_1 src1_sel:DWORD
	v_fma_f16 v0, v0, v2, v3
	ds_read2_b32 v[2:3], v57 offset1:225
	v_sub_f16_e32 v82, v0, v13
	v_sub_f16_e32 v83, v81, v14
	v_add_f16_e32 v82, v82, v83
	v_sub_f16_e32 v83, v26, v9
	v_sub_f16_e32 v84, v4, v6
	s_waitcnt lgkmcnt(0)
	v_lshrrev_b32_e32 v85, 16, v2
	v_add_f16_e32 v83, v83, v84
	v_add_f16_e32 v84, v2, v0
	;; [unrolled: 1-line block ×9, first 2 shown]
	v_pack_b32_f16 v84, v84, v95
	v_add_f16_e32 v95, v13, v14
	v_sub_f16_e32 v103, v0, v81
	v_sub_f16_e32 v105, v13, v14
	;; [unrolled: 1-line block ×3, first 2 shown]
	v_add_f16_e32 v0, v0, v81
	v_sub_f16_e32 v100, v9, v6
	v_fma_f16 v0, v0, -0.5, v2
	v_fma_f16 v95, v95, -0.5, v2
	v_sub_f16_e32 v98, v26, v4
	v_sub_f16_e32 v14, v14, v81
	v_fma_f16 v2, v100, s0, v0
	v_fma_f16 v0, v100, s15, v0
	v_add_f16_e32 v13, v13, v14
	v_fma_f16 v2, v98, s16, v2
	v_fma_f16 v0, v98, s1, v0
	;; [unrolled: 1-line block ×4, first 2 shown]
	v_add_f16_e32 v13, v26, v4
	v_add_f16_e32 v102, v9, v6
	v_fma_f16 v13, v13, -0.5, v85
	v_sub_f16_e32 v9, v9, v26
	v_sub_f16_e32 v4, v6, v4
	v_add_f16_e32 v4, v9, v4
	v_fma_f16 v6, v105, s15, v13
	v_fma_f16 v9, v105, s0, v13
	;; [unrolled: 1-line block ×6, first 2 shown]
	v_fma_f16 v102, v102, -0.5, v85
	v_pack_b32_f16 v2, v2, v6
	v_pack_b32_f16 v0, v0, v4
	s_barrier
	ds_write2_b32 v87, v2, v0 offset0:50 offset1:75
	v_fma_f16 v0, v98, s0, v95
	v_fma_f16 v2, v103, s15, v102
	;; [unrolled: 1-line block ×6, first 2 shown]
	v_pack_b32_f16 v0, v0, v2
	v_sub_f16_e32 v6, v12, v15
	v_sub_f16_e32 v9, v7, v16
	ds_write_b32 v87, v0 offset:400
	v_add_f16_e32 v0, v15, v16
	v_add_f16_e32 v2, v12, v7
	v_lshrrev_b32_e32 v4, 16, v3
	v_add_f16_e32 v6, v6, v9
	v_sub_f16_e32 v9, v18, v19
	v_sub_f16_e32 v13, v20, v21
	v_fma_f16 v0, v0, -0.5, v3
	v_fma_f16 v2, v2, -0.5, v3
	v_add_f16_e32 v3, v3, v12
	v_add_f16_e32 v9, v9, v13
	;; [unrolled: 1-line block ×3, first 2 shown]
	v_fma_f16 v99, v98, s15, v95
	v_fma_f16 v104, v103, s0, v102
	v_add_f16_e32 v3, v3, v15
	v_add_f16_e32 v13, v13, v19
	v_fma_f16 v99, v100, s16, v99
	v_fma_f16 v104, v105, s1, v104
	v_add_f16_e32 v3, v3, v16
	v_add_f16_e32 v13, v13, v21
	;; [unrolled: 4-line block ×3, first 2 shown]
	v_add_f16_e32 v81, v19, v21
	v_pack_b32_f16 v99, v99, v104
	v_pack_b32_f16 v3, v3, v13
	v_sub_f16_e32 v13, v18, v20
	v_fma_f16 v81, v81, -0.5, v4
	v_sub_f16_e32 v82, v12, v7
	ds_write2_b32 v87, v84, v99 offset1:25
	v_fma_f16 v14, v13, s15, v0
	v_sub_f16_e32 v26, v19, v21
	v_fma_f16 v83, v82, s0, v81
	v_sub_f16_e32 v84, v15, v16
	v_fma_f16 v14, v26, s16, v14
	v_fma_f16 v83, v84, s1, v83
	;; [unrolled: 1-line block ×4, first 2 shown]
	v_pack_b32_f16 v14, v14, v83
	ds_write2_b32 v92, v3, v14 offset1:25
	v_sub_f16_e32 v3, v15, v12
	v_sub_f16_e32 v7, v16, v7
	v_add_f16_e32 v3, v3, v7
	v_fma_f16 v7, v26, s0, v2
	v_fma_f16 v2, v26, s15, v2
	v_fma_f16 v7, v13, s16, v7
	v_fma_f16 v2, v13, s1, v2
	v_fma_f16 v7, v3, s6, v7
	v_fma_f16 v2, v3, s6, v2
	v_add_f16_e32 v3, v18, v20
	v_fma_f16 v3, v3, -0.5, v4
	v_sub_f16_e32 v4, v19, v18
	v_sub_f16_e32 v12, v21, v20
	v_add_f16_e32 v4, v4, v12
	v_fma_f16 v12, v84, s15, v3
	v_fma_f16 v3, v84, s0, v3
	;; [unrolled: 1-line block ×6, first 2 shown]
	v_pack_b32_f16 v4, v7, v12
	v_pack_b32_f16 v2, v2, v3
	ds_write2_b32 v92, v4, v2 offset0:50 offset1:75
	v_fma_f16 v0, v13, s0, v0
	v_fma_f16 v2, v82, s15, v81
	;; [unrolled: 1-line block ×6, first 2 shown]
	v_pack_b32_f16 v0, v0, v2
	v_sub_f16_e32 v4, v22, v5
	v_sub_f16_e32 v6, v25, v23
	ds_write_b32 v92, v0 offset:400
	v_add_f16_e32 v0, v5, v23
	v_add_f16_e32 v2, v22, v25
	v_lshrrev_b32_e32 v3, 16, v1
	v_add_f16_e32 v4, v4, v6
	v_sub_f16_e32 v6, v8, v17
	v_sub_f16_e32 v7, v11, v10
	v_fma_f16 v0, v0, -0.5, v1
	v_fma_f16 v2, v2, -0.5, v1
	v_add_f16_e32 v1, v1, v22
	v_add_f16_e32 v6, v6, v7
	;; [unrolled: 1-line block ×10, first 2 shown]
	v_pack_b32_f16 v1, v1, v7
	v_sub_f16_e32 v7, v8, v11
	v_fma_f16 v13, v13, -0.5, v3
	v_sub_f16_e32 v14, v22, v25
	v_fma_f16 v9, v7, s15, v0
	v_sub_f16_e32 v12, v17, v10
	v_fma_f16 v15, v14, s0, v13
	;; [unrolled: 2-line block ×3, first 2 shown]
	v_fma_f16 v15, v16, s1, v15
	v_fma_f16 v9, v4, s6, v9
	v_fma_f16 v15, v6, s6, v15
	v_pack_b32_f16 v9, v9, v15
	ds_write2_b32 v93, v1, v9 offset1:25
	v_sub_f16_e32 v1, v5, v22
	v_sub_f16_e32 v5, v23, v25
	v_add_f16_e32 v1, v1, v5
	v_fma_f16 v5, v12, s0, v2
	v_fma_f16 v2, v12, s15, v2
	;; [unrolled: 1-line block ×6, first 2 shown]
	v_add_f16_e32 v2, v8, v11
	v_fma_f16 v2, v2, -0.5, v3
	v_sub_f16_e32 v3, v17, v8
	v_sub_f16_e32 v8, v10, v11
	v_add_f16_e32 v3, v3, v8
	v_fma_f16 v8, v16, s15, v2
	v_fma_f16 v2, v16, s0, v2
	v_fma_f16 v8, v14, s1, v8
	v_fma_f16 v2, v14, s16, v2
	v_fma_f16 v8, v3, s6, v8
	v_fma_f16 v2, v3, s6, v2
	v_pack_b32_f16 v3, v5, v8
	v_pack_b32_f16 v1, v1, v2
	ds_write2_b32 v93, v3, v1 offset0:50 offset1:75
	v_fma_f16 v0, v7, s0, v0
	v_fma_f16 v1, v14, s15, v13
	;; [unrolled: 1-line block ×6, first 2 shown]
	v_pack_b32_f16 v0, v0, v1
	ds_write_b32 v93, v0 offset:400
	s_waitcnt lgkmcnt(0)
	s_barrier
	ds_read_b32 v2, v57 offset:12600
	ds_read2_b32 v[0:1], v78 offset0:8 offset1:233
	s_movk_i32 s6, 0x1ff
	s_waitcnt lgkmcnt(1)
	v_lshrrev_b32_e32 v3, 16, v2
	v_mul_f16_sdwa v4, v36, v3 dst_sel:DWORD dst_unused:UNUSED_PAD src0_sel:WORD_1 src1_sel:DWORD
	v_fma_f16 v5, v36, v2, v4
	v_mul_f16_sdwa v2, v36, v2 dst_sel:DWORD dst_unused:UNUSED_PAD src0_sel:WORD_1 src1_sel:DWORD
	v_fma_f16 v6, v36, v3, -v2
	s_waitcnt lgkmcnt(0)
	v_lshrrev_b32_e32 v2, 16, v1
	v_mul_f16_sdwa v3, v35, v1 dst_sel:DWORD dst_unused:UNUSED_PAD src0_sel:WORD_1 src1_sel:DWORD
	v_fma_f16 v7, v35, v2, -v3
	v_mul_f16_sdwa v2, v35, v2 dst_sel:DWORD dst_unused:UNUSED_PAD src0_sel:WORD_1 src1_sel:DWORD
	v_fma_f16 v8, v35, v1, v2
	ds_read2_b32 v[1:2], v76 offset0:12 offset1:237
	v_lshrrev_b32_e32 v3, 16, v0
	v_mul_f16_sdwa v4, v33, v3 dst_sel:DWORD dst_unused:UNUSED_PAD src0_sel:WORD_1 src1_sel:DWORD
	v_fma_f16 v9, v33, v0, v4
	v_mul_f16_sdwa v0, v33, v0 dst_sel:DWORD dst_unused:UNUSED_PAD src0_sel:WORD_1 src1_sel:DWORD
	v_fma_f16 v10, v33, v3, -v0
	s_waitcnt lgkmcnt(0)
	v_lshrrev_b32_e32 v0, 16, v2
	v_mul_f16_sdwa v3, v34, v2 dst_sel:DWORD dst_unused:UNUSED_PAD src0_sel:WORD_1 src1_sel:DWORD
	v_fma_f16 v11, v34, v0, -v3
	v_mul_f16_sdwa v0, v34, v0 dst_sel:DWORD dst_unused:UNUSED_PAD src0_sel:WORD_1 src1_sel:DWORD
	v_fma_f16 v12, v34, v2, v0
	ds_read2_b32 v[2:3], v79 offset0:6 offset1:231
	;; [unrolled: 12-line block ×3, first 2 shown]
	v_lshrrev_b32_e32 v3, 16, v2
	v_mul_f16_sdwa v4, v29, v3 dst_sel:DWORD dst_unused:UNUSED_PAD src0_sel:WORD_1 src1_sel:DWORD
	v_fma_f16 v17, v29, v2, v4
	v_mul_f16_sdwa v2, v29, v2 dst_sel:DWORD dst_unused:UNUSED_PAD src0_sel:WORD_1 src1_sel:DWORD
	v_fma_f16 v18, v29, v3, -v2
	s_waitcnt lgkmcnt(0)
	v_lshrrev_b32_e32 v2, 16, v1
	v_mul_f16_sdwa v3, v30, v1 dst_sel:DWORD dst_unused:UNUSED_PAD src0_sel:WORD_1 src1_sel:DWORD
	v_fma_f16 v19, v30, v2, -v3
	v_mul_f16_sdwa v2, v30, v2 dst_sel:DWORD dst_unused:UNUSED_PAD src0_sel:WORD_1 src1_sel:DWORD
	v_lshrrev_b32_e32 v3, 16, v0
	v_fma_f16 v20, v30, v1, v2
	ds_read2_b32 v[1:2], v71 offset0:4 offset1:229
	v_mul_f16_sdwa v4, v28, v3 dst_sel:DWORD dst_unused:UNUSED_PAD src0_sel:WORD_1 src1_sel:DWORD
	v_fma_f16 v21, v28, v0, v4
	v_mul_f16_sdwa v0, v28, v0 dst_sel:DWORD dst_unused:UNUSED_PAD src0_sel:WORD_1 src1_sel:DWORD
	v_fma_f16 v0, v28, v3, -v0
	ds_read2_b32 v[3:4], v57 offset1:225
	s_waitcnt lgkmcnt(1)
	v_lshrrev_b32_e32 v22, 16, v2
	v_mul_f16_sdwa v23, v27, v2 dst_sel:DWORD dst_unused:UNUSED_PAD src0_sel:WORD_1 src1_sel:DWORD
	v_fma_f16 v23, v27, v22, -v23
	v_mul_f16_sdwa v22, v27, v22 dst_sel:DWORD dst_unused:UNUSED_PAD src0_sel:WORD_1 src1_sel:DWORD
	v_fma_f16 v2, v27, v2, v22
	s_waitcnt lgkmcnt(0)
	v_lshrrev_b32_e32 v22, 16, v3
	v_add_f16_e32 v25, v22, v23
	v_add_f16_e32 v25, v25, v0
	v_sub_f16_e32 v26, v23, v0
	v_add_f16_e32 v0, v23, v0
	v_fma_f16 v0, v0, -0.5, v22
	v_add_f16_e32 v22, v3, v2
	v_add_f16_e32 v23, v2, v21
	;; [unrolled: 1-line block ×3, first 2 shown]
	v_sub_f16_e32 v21, v2, v21
	v_fma_f16 v23, v23, -0.5, v3
	v_fma_f16 v2, v26, s13, v23
	v_fma_f16 v3, v21, s12, v0
	v_pack_b32_f16 v22, v22, v25
	v_pack_b32_f16 v25, v2, v3
	ds_read2_b32 v[2:3], v80 offset0:2 offset1:227
	s_waitcnt lgkmcnt(0)
	s_barrier
	ds_write2_b32 v86, v22, v25 offset1:125
	v_fma_f16 v22, v26, s12, v23
	v_fma_f16 v0, v21, s13, v0
	v_pack_b32_f16 v0, v22, v0
	v_lshrrev_b32_e32 v21, 16, v4
	ds_write_b32 v86, v0 offset:1000
	v_add_f16_e32 v0, v17, v20
	v_add_f16_e32 v22, v21, v18
	v_sub_f16_e32 v23, v18, v19
	v_add_f16_e32 v18, v18, v19
	v_fma_f16 v0, v0, -0.5, v4
	v_add_f16_e32 v4, v4, v17
	v_fma_f16 v18, v18, -0.5, v21
	v_sub_f16_e32 v17, v17, v20
	v_add_f16_e32 v22, v22, v19
	v_add_f16_e32 v4, v4, v20
	v_fma_f16 v19, v23, s13, v0
	v_fma_f16 v20, v17, s12, v18
	v_pack_b32_f16 v4, v4, v22
	v_pack_b32_f16 v19, v19, v20
	ds_write2_b32 v88, v4, v19 offset1:125
	v_fma_f16 v0, v23, s12, v0
	v_fma_f16 v4, v17, s13, v18
	v_pack_b32_f16 v0, v0, v4
	ds_write_b32 v88, v0 offset:1000
	v_lshrrev_b32_e32 v0, 16, v2
	v_add_f16_e32 v4, v0, v15
	v_add_f16_e32 v4, v4, v14
	v_sub_f16_e32 v17, v15, v14
	v_add_f16_e32 v14, v15, v14
	v_fma_f16 v0, v14, -0.5, v0
	v_add_f16_e32 v14, v2, v16
	v_add_f16_e32 v15, v16, v13
	;; [unrolled: 1-line block ×3, first 2 shown]
	v_sub_f16_e32 v13, v16, v13
	v_fma_f16 v2, v15, -0.5, v2
	v_pack_b32_f16 v4, v14, v4
	v_fma_f16 v14, v17, s13, v2
	v_fma_f16 v15, v13, s12, v0
	v_fma_f16 v2, v17, s12, v2
	v_fma_f16 v0, v13, s13, v0
	v_pack_b32_f16 v0, v2, v0
	v_pack_b32_f16 v14, v14, v15
	ds_write_b32 v90, v0 offset:1000
	v_add_f16_e32 v0, v9, v12
	v_lshrrev_b32_e32 v2, 16, v3
	ds_write2_b32 v90, v4, v14 offset1:125
	v_fma_f16 v0, v0, -0.5, v3
	v_add_f16_e32 v3, v3, v9
	v_add_f16_e32 v4, v2, v10
	v_sub_f16_e32 v13, v10, v11
	v_add_f16_e32 v10, v10, v11
	v_add_f16_e32 v4, v4, v11
	v_fma_f16 v2, v10, -0.5, v2
	v_add_f16_e32 v3, v3, v12
	v_sub_f16_e32 v9, v9, v12
	v_pack_b32_f16 v3, v3, v4
	v_fma_f16 v4, v13, s13, v0
	v_fma_f16 v10, v9, s12, v2
	v_pack_b32_f16 v4, v4, v10
	ds_write2_b32 v89, v3, v4 offset1:125
	v_add_f16_e32 v3, v8, v5
	v_fma_f16 v2, v9, s13, v2
	v_fma_f16 v3, v3, -0.5, v1
	v_lshrrev_b32_e32 v4, 16, v1
	v_sub_f16_e32 v9, v7, v6
	v_fma_f16 v10, v9, s13, v3
	v_fma_f16 v3, v9, s12, v3
	v_add_f16_e32 v9, v4, v7
	v_add_f16_e32 v1, v1, v8
	;; [unrolled: 1-line block ×4, first 2 shown]
	v_fma_f16 v0, v13, s12, v0
	v_fma_f16 v4, v6, -0.5, v4
	v_add_f16_e32 v1, v1, v5
	v_sub_f16_e32 v5, v8, v5
	v_fma_f16 v6, v5, s12, v4
	v_pack_b32_f16 v0, v0, v2
	v_fma_f16 v4, v5, s13, v4
	ds_write_b32 v89, v0 offset:1000
	v_pack_b32_f16 v0, v1, v9
	v_pack_b32_f16 v1, v10, v6
	ds_write2_b32 v91, v0, v1 offset1:125
	v_pack_b32_f16 v0, v3, v4
	ds_write_b32 v91, v0 offset:1000
	s_waitcnt lgkmcnt(0)
	s_barrier
	ds_read2_b32 v[0:1], v78 offset0:8 offset1:233
	ds_read_b32 v6, v57 offset:12600
	ds_read2_b32 v[2:3], v79 offset0:6 offset1:231
	ds_read2_b32 v[4:5], v76 offset0:12 offset1:237
	s_waitcnt lgkmcnt(3)
	v_lshrrev_b32_e32 v7, 16, v1
	s_waitcnt lgkmcnt(2)
	v_lshrrev_b32_e32 v8, 16, v6
	v_mul_f16_sdwa v9, v46, v8 dst_sel:DWORD dst_unused:UNUSED_PAD src0_sel:WORD_1 src1_sel:DWORD
	v_fma_f16 v9, v46, v6, v9
	v_mul_f16_sdwa v6, v46, v6 dst_sel:DWORD dst_unused:UNUSED_PAD src0_sel:WORD_1 src1_sel:DWORD
	v_fma_f16 v6, v46, v8, -v6
	v_mul_f16_sdwa v8, v45, v1 dst_sel:DWORD dst_unused:UNUSED_PAD src0_sel:WORD_1 src1_sel:DWORD
	v_fma_f16 v8, v45, v7, -v8
	v_mul_f16_sdwa v7, v45, v7 dst_sel:DWORD dst_unused:UNUSED_PAD src0_sel:WORD_1 src1_sel:DWORD
	v_fma_f16 v7, v45, v1, v7
	v_lshrrev_b32_e32 v1, 16, v0
	v_mul_f16_sdwa v10, v43, v1 dst_sel:DWORD dst_unused:UNUSED_PAD src0_sel:WORD_1 src1_sel:DWORD
	v_fma_f16 v10, v43, v0, v10
	v_mul_f16_sdwa v0, v43, v0 dst_sel:DWORD dst_unused:UNUSED_PAD src0_sel:WORD_1 src1_sel:DWORD
	s_waitcnt lgkmcnt(0)
	v_lshrrev_b32_e32 v11, 16, v5
	v_fma_f16 v12, v43, v1, -v0
	v_mul_f16_sdwa v0, v44, v5 dst_sel:DWORD dst_unused:UNUSED_PAD src0_sel:WORD_1 src1_sel:DWORD
	v_fma_f16 v13, v44, v11, -v0
	v_mul_f16_sdwa v0, v44, v11 dst_sel:DWORD dst_unused:UNUSED_PAD src0_sel:WORD_1 src1_sel:DWORD
	v_fma_f16 v5, v44, v5, v0
	v_lshrrev_b32_e32 v0, 16, v4
	v_mul_f16_sdwa v1, v42, v0 dst_sel:DWORD dst_unused:UNUSED_PAD src0_sel:WORD_1 src1_sel:DWORD
	v_fma_f16 v11, v42, v4, v1
	v_mul_f16_sdwa v1, v42, v4 dst_sel:DWORD dst_unused:UNUSED_PAD src0_sel:WORD_1 src1_sel:DWORD
	v_lshrrev_b32_e32 v4, 16, v3
	v_fma_f16 v14, v42, v0, -v1
	v_mul_f16_sdwa v0, v41, v3 dst_sel:DWORD dst_unused:UNUSED_PAD src0_sel:WORD_1 src1_sel:DWORD
	v_fma_f16 v15, v41, v4, -v0
	v_mul_f16_sdwa v0, v41, v4 dst_sel:DWORD dst_unused:UNUSED_PAD src0_sel:WORD_1 src1_sel:DWORD
	v_fma_f16 v16, v41, v3, v0
	ds_read2_b32 v[0:1], v69 offset0:10 offset1:235
	v_lshrrev_b32_e32 v3, 16, v2
	v_mul_f16_sdwa v4, v39, v3 dst_sel:DWORD dst_unused:UNUSED_PAD src0_sel:WORD_1 src1_sel:DWORD
	v_fma_f16 v17, v39, v2, v4
	v_mul_f16_sdwa v2, v39, v2 dst_sel:DWORD dst_unused:UNUSED_PAD src0_sel:WORD_1 src1_sel:DWORD
	v_fma_f16 v18, v39, v3, -v2
	s_waitcnt lgkmcnt(0)
	v_lshrrev_b32_e32 v2, 16, v1
	v_mul_f16_sdwa v3, v40, v1 dst_sel:DWORD dst_unused:UNUSED_PAD src0_sel:WORD_1 src1_sel:DWORD
	v_fma_f16 v19, v40, v2, -v3
	v_mul_f16_sdwa v2, v40, v2 dst_sel:DWORD dst_unused:UNUSED_PAD src0_sel:WORD_1 src1_sel:DWORD
	v_fma_f16 v20, v40, v1, v2
	ds_read2_b32 v[1:2], v71 offset0:4 offset1:229
	v_lshrrev_b32_e32 v3, 16, v0
	v_mul_f16_sdwa v4, v38, v3 dst_sel:DWORD dst_unused:UNUSED_PAD src0_sel:WORD_1 src1_sel:DWORD
	v_fma_f16 v21, v38, v0, v4
	v_mul_f16_sdwa v0, v38, v0 dst_sel:DWORD dst_unused:UNUSED_PAD src0_sel:WORD_1 src1_sel:DWORD
	v_fma_f16 v0, v38, v3, -v0
	ds_read2_b32 v[3:4], v57 offset1:225
	s_waitcnt lgkmcnt(1)
	v_lshrrev_b32_e32 v22, 16, v2
	v_mul_f16_sdwa v23, v37, v2 dst_sel:DWORD dst_unused:UNUSED_PAD src0_sel:WORD_1 src1_sel:DWORD
	v_fma_f16 v23, v37, v22, -v23
	v_mul_f16_sdwa v22, v37, v22 dst_sel:DWORD dst_unused:UNUSED_PAD src0_sel:WORD_1 src1_sel:DWORD
	v_fma_f16 v2, v37, v2, v22
	v_add_f16_e32 v22, v2, v21
	s_waitcnt lgkmcnt(0)
	v_fma_f16 v22, v22, -0.5, v3
	v_sub_f16_e32 v25, v23, v0
	v_fma_f16 v26, v25, s13, v22
	v_fma_f16 v22, v25, s12, v22
	v_lshrrev_b32_e32 v25, 16, v3
	v_add_f16_e32 v27, v25, v23
	v_add_f16_e32 v27, v27, v0
	;; [unrolled: 1-line block ×3, first 2 shown]
	v_fma_f16 v0, v0, -0.5, v25
	v_add_f16_e32 v3, v3, v2
	v_sub_f16_e32 v2, v2, v21
	v_add_f16_e32 v23, v3, v21
	v_fma_f16 v21, v2, s12, v0
	v_fma_f16 v0, v2, s13, v0
	v_add_f16_e32 v2, v17, v20
	v_fma_f16 v2, v2, -0.5, v4
	v_lshrrev_b32_e32 v3, 16, v4
	v_sub_f16_e32 v25, v18, v19
	v_fma_f16 v28, v25, s13, v2
	v_fma_f16 v25, v25, s12, v2
	v_add_f16_e32 v2, v3, v18
	v_add_f16_e32 v29, v2, v19
	;; [unrolled: 1-line block ×3, first 2 shown]
	v_fma_f16 v18, v2, -0.5, v3
	ds_read2_b32 v[2:3], v80 offset0:2 offset1:227
	v_add_f16_e32 v4, v4, v17
	v_sub_f16_e32 v17, v17, v20
	v_fma_f16 v19, v17, s12, v18
	v_fma_f16 v17, v17, s13, v18
	v_add_f16_e32 v18, v16, v11
	v_add_f16_e32 v4, v4, v20
	s_waitcnt lgkmcnt(0)
	v_fma_f16 v18, v18, -0.5, v2
	v_sub_f16_e32 v20, v15, v14
	v_fma_f16 v30, v20, s13, v18
	v_fma_f16 v18, v20, s12, v18
	v_lshrrev_b32_e32 v20, 16, v2
	v_add_f16_e32 v31, v20, v15
	v_add_f16_e32 v31, v31, v14
	;; [unrolled: 1-line block ×4, first 2 shown]
	v_fma_f16 v14, v14, -0.5, v20
	v_add_f16_e32 v2, v2, v11
	v_sub_f16_e32 v11, v16, v11
	v_fma_f16 v15, v11, s12, v14
	v_fma_f16 v11, v11, s13, v14
	v_add_f16_e32 v14, v10, v5
	v_fma_f16 v14, v14, -0.5, v3
	v_lshrrev_b32_e32 v16, 16, v3
	v_sub_f16_e32 v20, v12, v13
	v_add_f16_e32 v3, v3, v10
	v_fma_f16 v32, v20, s13, v14
	v_fma_f16 v14, v20, s12, v14
	v_add_f16_e32 v20, v16, v12
	v_add_f16_e32 v12, v12, v13
	v_fma_f16 v12, v12, -0.5, v16
	v_add_f16_e32 v3, v3, v5
	v_sub_f16_e32 v5, v10, v5
	v_fma_f16 v10, v5, s12, v12
	v_fma_f16 v5, v5, s13, v12
	v_add_f16_e32 v12, v7, v9
	v_add_f16_e32 v20, v20, v13
	v_fma_f16 v12, v12, -0.5, v1
	v_lshrrev_b32_e32 v13, 16, v1
	v_sub_f16_e32 v16, v8, v6
	v_fma_f16 v33, v16, s13, v12
	v_fma_f16 v12, v16, s12, v12
	v_add_f16_e32 v16, v13, v8
	v_add_f16_e32 v16, v16, v6
	;; [unrolled: 1-line block ×4, first 2 shown]
	v_fma_f16 v6, v6, -0.5, v13
	v_sub_f16_e32 v7, v7, v9
	v_fma_f16 v8, v7, s12, v6
	v_fma_f16 v6, v7, s13, v6
	v_pack_b32_f16 v7, v23, v27
	v_pack_b32_f16 v0, v22, v0
	s_barrier
	ds_write_b32 v57, v7
	v_pack_b32_f16 v7, v26, v21
	ds_write_b32 v57, v0 offset:3000
	v_pack_b32_f16 v0, v4, v29
	ds_write_b32 v57, v7 offset:1500
	ds_write_b32 v94, v0
	v_pack_b32_f16 v0, v28, v19
	ds_write_b32 v94, v0 offset:1500
	v_pack_b32_f16 v0, v25, v17
	ds_write_b32 v94, v0 offset:3000
	;; [unrolled: 2-line block ×5, first 2 shown]
	v_pack_b32_f16 v0, v3, v20
	ds_write_b32 v96, v0
	v_pack_b32_f16 v0, v32, v10
	v_add_f16_e32 v1, v1, v9
	ds_write_b32 v96, v0 offset:1500
	v_pack_b32_f16 v0, v14, v5
	ds_write_b32 v96, v0 offset:3000
	v_pack_b32_f16 v0, v1, v16
	;; [unrolled: 2-line block ×4, first 2 shown]
	ds_write_b32 v97, v0 offset:12000
	s_waitcnt lgkmcnt(0)
	s_barrier
	ds_read2_b32 v[0:1], v57 offset1:225
	ds_read2_b32 v[2:3], v71 offset0:4 offset1:229
	ds_read2_b32 v[4:5], v69 offset0:10 offset1:235
	;; [unrolled: 1-line block ×4, first 2 shown]
	ds_read_b32 v28, v57 offset:12600
	s_waitcnt lgkmcnt(4)
	v_lshrrev_b32_e32 v13, 16, v3
	v_mul_f16_sdwa v21, v49, v13 dst_sel:DWORD dst_unused:UNUSED_PAD src0_sel:WORD_1 src1_sel:DWORD
	v_fma_f16 v21, v49, v3, v21
	v_mul_f16_sdwa v3, v49, v3 dst_sel:DWORD dst_unused:UNUSED_PAD src0_sel:WORD_1 src1_sel:DWORD
	s_waitcnt lgkmcnt(3)
	v_lshrrev_b32_e32 v14, 16, v4
	s_waitcnt lgkmcnt(2)
	v_lshrrev_b32_e32 v19, 16, v7
	v_fma_f16 v13, v49, v13, -v3
	v_mul_f16_sdwa v3, v50, v4 dst_sel:DWORD dst_unused:UNUSED_PAD src0_sel:WORD_1 src1_sel:DWORD
	v_lshrrev_b32_e32 v17, 16, v5
	v_fma_f16 v22, v50, v14, -v3
	v_mul_f16_sdwa v3, v50, v14 dst_sel:DWORD dst_unused:UNUSED_PAD src0_sel:WORD_1 src1_sel:DWORD
	v_mul_f16_sdwa v25, v51, v19 dst_sel:DWORD dst_unused:UNUSED_PAD src0_sel:WORD_1 src1_sel:DWORD
	v_fma_f16 v14, v50, v4, v3
	v_mul_f16_sdwa v3, v48, v17 dst_sel:DWORD dst_unused:UNUSED_PAD src0_sel:WORD_1 src1_sel:DWORD
	v_fma_f16 v25, v51, v7, v25
	v_mul_f16_sdwa v7, v51, v7 dst_sel:DWORD dst_unused:UNUSED_PAD src0_sel:WORD_1 src1_sel:DWORD
	s_waitcnt lgkmcnt(1)
	v_lshrrev_b32_e32 v20, 16, v10
	v_fma_f16 v23, v48, v5, v3
	ds_read2_b32 v[3:4], v78 offset0:8 offset1:233
	v_fma_f16 v7, v51, v19, -v7
	v_mul_f16_sdwa v19, v52, v10 dst_sel:DWORD dst_unused:UNUSED_PAD src0_sel:WORD_1 src1_sel:DWORD
	v_fma_f16 v19, v52, v20, -v19
	v_mul_f16_sdwa v20, v52, v20 dst_sel:DWORD dst_unused:UNUSED_PAD src0_sel:WORD_1 src1_sel:DWORD
	v_fma_f16 v10, v52, v10, v20
	v_lshrrev_b32_e32 v20, 16, v11
	v_mul_f16_sdwa v27, v54, v20 dst_sel:DWORD dst_unused:UNUSED_PAD src0_sel:WORD_1 src1_sel:DWORD
	v_fma_f16 v27, v54, v11, v27
	v_mul_f16_sdwa v11, v54, v11 dst_sel:DWORD dst_unused:UNUSED_PAD src0_sel:WORD_1 src1_sel:DWORD
	s_waitcnt lgkmcnt(0)
	v_lshrrev_b32_e32 v26, 16, v3
	v_fma_f16 v11, v54, v20, -v11
	v_mul_f16_sdwa v20, v53, v3 dst_sel:DWORD dst_unused:UNUSED_PAD src0_sel:WORD_1 src1_sel:DWORD
	v_fma_f16 v20, v53, v26, -v20
	v_mul_f16_sdwa v26, v53, v26 dst_sel:DWORD dst_unused:UNUSED_PAD src0_sel:WORD_1 src1_sel:DWORD
	v_fma_f16 v3, v53, v3, v26
	v_lshrrev_b32_e32 v26, 16, v4
	v_mul_f16_sdwa v29, v55, v26 dst_sel:DWORD dst_unused:UNUSED_PAD src0_sel:WORD_1 src1_sel:DWORD
	v_fma_f16 v29, v55, v4, v29
	v_mul_f16_sdwa v4, v55, v4 dst_sel:DWORD dst_unused:UNUSED_PAD src0_sel:WORD_1 src1_sel:DWORD
	v_lshrrev_b32_e32 v30, 16, v28
	v_fma_f16 v4, v55, v26, -v4
	v_mul_f16_sdwa v26, v56, v30 dst_sel:DWORD dst_unused:UNUSED_PAD src0_sel:WORD_1 src1_sel:DWORD
	v_mul_f16_sdwa v5, v48, v5 dst_sel:DWORD dst_unused:UNUSED_PAD src0_sel:WORD_1 src1_sel:DWORD
	v_fma_f16 v26, v56, v28, v26
	v_mul_f16_sdwa v28, v56, v28 dst_sel:DWORD dst_unused:UNUSED_PAD src0_sel:WORD_1 src1_sel:DWORD
	v_lshrrev_b32_e32 v16, 16, v6
	v_fma_f16 v5, v48, v17, -v5
	v_mul_f16_sdwa v17, v47, v6 dst_sel:DWORD dst_unused:UNUSED_PAD src0_sel:WORD_1 src1_sel:DWORD
	v_fma_f16 v28, v56, v30, -v28
	v_add_f16_e32 v30, v21, v14
	v_lshrrev_b32_e32 v12, 16, v0
	v_fma_f16 v17, v47, v16, -v17
	v_mul_f16_sdwa v16, v47, v16 dst_sel:DWORD dst_unused:UNUSED_PAD src0_sel:WORD_1 src1_sel:DWORD
	v_fma_f16 v30, v30, -0.5, v0
	v_sub_f16_e32 v31, v13, v22
	v_fma_f16 v6, v47, v6, v16
	v_fma_f16 v32, v31, s13, v30
	;; [unrolled: 1-line block ×3, first 2 shown]
	v_add_f16_e32 v31, v12, v13
	v_add_f16_e32 v13, v13, v22
	;; [unrolled: 1-line block ×3, first 2 shown]
	v_fma_f16 v12, v13, -0.5, v12
	v_sub_f16_e32 v13, v21, v14
	v_add_f16_e32 v21, v6, v23
	ds_read2_b32 v[8:9], v80 offset0:2 offset1:227
	v_lshrrev_b32_e32 v15, 16, v1
	v_add_f16_e32 v0, v0, v14
	v_fma_f16 v14, v13, s12, v12
	v_fma_f16 v12, v13, s13, v12
	v_add_f16_e32 v13, v1, v6
	v_fma_f16 v1, v21, -0.5, v1
	v_sub_f16_e32 v21, v17, v5
	v_add_f16_e32 v31, v31, v22
	v_fma_f16 v22, v21, s13, v1
	v_fma_f16 v1, v21, s12, v1
	v_add_f16_e32 v21, v15, v17
	v_add_f16_e32 v21, v21, v5
	;; [unrolled: 1-line block ×3, first 2 shown]
	v_fma_f16 v5, v5, -0.5, v15
	v_sub_f16_e32 v6, v6, v23
	v_fma_f16 v15, v6, s12, v5
	v_fma_f16 v5, v6, s13, v5
	v_add_f16_e32 v6, v25, v10
	s_waitcnt lgkmcnt(0)
	v_lshrrev_b32_e32 v18, 16, v8
	v_fma_f16 v6, v6, -0.5, v8
	v_sub_f16_e32 v17, v7, v19
	v_add_f16_e32 v13, v13, v23
	v_fma_f16 v23, v17, s13, v6
	v_fma_f16 v6, v17, s12, v6
	v_add_f16_e32 v17, v18, v7
	v_add_f16_e32 v7, v7, v19
	;; [unrolled: 1-line block ×5, first 2 shown]
	v_fma_f16 v7, v7, -0.5, v18
	v_sub_f16_e32 v10, v25, v10
	v_add_f16_e32 v19, v3, v27
	v_lshrrev_b32_e32 v16, 16, v9
	v_fma_f16 v18, v10, s12, v7
	v_fma_f16 v7, v10, s13, v7
	v_add_f16_e32 v10, v9, v3
	v_fma_f16 v9, v19, -0.5, v9
	v_sub_f16_e32 v19, v20, v11
	v_fma_f16 v25, v19, s13, v9
	v_fma_f16 v9, v19, s12, v9
	v_add_f16_e32 v19, v16, v20
	v_add_f16_e32 v19, v19, v11
	;; [unrolled: 1-line block ×3, first 2 shown]
	v_pack_b32_f16 v12, v30, v12
	v_add_f16_e32 v10, v10, v27
	v_fma_f16 v11, v11, -0.5, v16
	v_sub_f16_e32 v3, v3, v27
	v_add_f16_e32 v27, v29, v26
	v_pack_b32_f16 v0, v0, v31
	v_pack_b32_f16 v14, v32, v14
	ds_write_b32 v57, v12 offset:9000
	v_pack_b32_f16 v12, v13, v21
	v_lshrrev_b32_e32 v20, 16, v2
	v_fma_f16 v16, v3, s12, v11
	v_fma_f16 v3, v3, s13, v11
	v_add_f16_e32 v11, v2, v29
	v_fma_f16 v2, v27, -0.5, v2
	v_sub_f16_e32 v27, v4, v28
	ds_write_b32 v57, v14 offset:4500
	ds_write2_b32 v57, v0, v12 offset1:225
	v_pack_b32_f16 v0, v22, v15
	v_pack_b32_f16 v1, v1, v5
	;; [unrolled: 1-line block ×4, first 2 shown]
	v_fma_f16 v33, v27, s13, v2
	v_fma_f16 v2, v27, s12, v2
	v_add_f16_e32 v27, v20, v4
	v_add_f16_e32 v4, v4, v28
	ds_write2_b32 v79, v0, v8 offset0:6 offset1:231
	v_pack_b32_f16 v0, v6, v7
	v_add_f16_e32 v11, v11, v26
	v_add_f16_e32 v27, v27, v28
	v_fma_f16 v4, v4, -0.5, v20
	v_sub_f16_e32 v20, v29, v26
	ds_write2_b32 v101, v1, v0 offset0:11 offset1:236
	v_pack_b32_f16 v0, v10, v19
	v_pack_b32_f16 v1, v9, v3
	v_fma_f16 v26, v20, s12, v4
	ds_write2_b32 v80, v5, v0 offset0:2 offset1:227
	ds_write_b32 v57, v1 offset:11700
	v_pack_b32_f16 v1, v11, v27
	v_fma_f16 v4, v20, s13, v4
	v_pack_b32_f16 v0, v25, v16
	ds_write_b32 v57, v1 offset:3600
	v_pack_b32_f16 v1, v33, v26
	ds_write2_b32 v78, v0, v1 offset0:8 offset1:233
	v_pack_b32_f16 v0, v2, v4
	ds_write_b32 v57, v0 offset:12600
	s_waitcnt lgkmcnt(0)
	s_barrier
	ds_read2_b32 v[2:3], v57 offset1:225
	v_mad_u64_u32 v[4:5], s[0:1], s10, v24, 0
	s_movk_i32 s10, 0x40f
	s_waitcnt lgkmcnt(0)
	v_lshrrev_b32_e32 v7, 16, v2
	v_mul_f16_sdwa v0, v77, v7 dst_sel:DWORD dst_unused:UNUSED_PAD src0_sel:WORD_1 src1_sel:DWORD
	v_fma_f16 v0, v77, v2, v0
	v_cvt_f32_f16_e32 v0, v0
	v_mad_u64_u32 v[5:6], s[0:1], s11, v24, v[5:6]
	v_mul_f16_sdwa v2, v77, v2 dst_sel:DWORD dst_unused:UNUSED_PAD src0_sel:WORD_1 src1_sel:DWORD
	v_cvt_f64_f32_e32 v[0:1], v0
	v_fma_f16 v2, v77, v7, -v2
	v_cvt_f32_f16_e32 v2, v2
	s_mov_b32 s11, 0x8000
	v_mul_f64 v[0:1], v[0:1], s[2:3]
	v_lshlrev_b64 v[4:5], 2, v[4:5]
	v_and_or_b32 v0, v1, s6, v0
	v_cmp_ne_u32_e32 vcc, 0, v0
	v_cndmask_b32_e64 v0, 0, 1, vcc
	v_lshrrev_b32_e32 v6, 8, v1
	v_bfe_u32 v8, v1, 20, 11
	v_and_or_b32 v0, v6, s7, v0
	v_sub_u32_e32 v9, 0x3f1, v8
	v_or_b32_e32 v6, 0x1000, v0
	v_med3_i32 v9, v9, 0, 13
	v_lshrrev_b32_e32 v10, v9, v6
	v_lshlrev_b32_e32 v9, v9, v10
	v_cmp_ne_u32_e32 vcc, v9, v6
	v_cndmask_b32_e64 v6, 0, 1, vcc
	v_add_u32_e32 v9, 0xfffffc10, v8
	v_or_b32_e32 v6, v10, v6
	v_lshl_or_b32 v8, v9, 12, v0
	v_cmp_gt_i32_e32 vcc, 1, v9
	v_cndmask_b32_e32 v6, v8, v6, vcc
	v_and_b32_e32 v8, 7, v6
	v_cmp_lt_i32_e32 vcc, 5, v8
	v_cmp_eq_u32_e64 s[0:1], 3, v8
	v_lshrrev_b32_e32 v6, 2, v6
	s_or_b64 vcc, s[0:1], vcc
	v_addc_co_u32_e32 v10, vcc, 0, v6, vcc
	v_cvt_f64_f32_e32 v[6:7], v2
	v_mov_b32_e32 v8, 0x7c00
	v_cmp_gt_i32_e32 vcc, 31, v9
	v_cndmask_b32_e32 v2, v8, v10, vcc
	v_mul_f64 v[6:7], v[6:7], s[2:3]
	v_cmp_ne_u32_e32 vcc, 0, v0
	v_cndmask_b32_e64 v0, 0, 1, vcc
	v_lshl_or_b32 v0, v0, 9, v8
	v_cmp_eq_u32_e32 vcc, s10, v9
	v_cndmask_b32_e32 v0, v2, v0, vcc
	v_lshrrev_b32_e32 v1, 16, v1
	v_and_or_b32 v11, v1, s11, v0
	v_and_or_b32 v0, v7, s6, v6
	v_cmp_ne_u32_e32 vcc, 0, v0
	v_cndmask_b32_e64 v0, 0, 1, vcc
	v_lshrrev_b32_e32 v1, 8, v7
	v_bfe_u32 v2, v7, 20, 11
	v_and_or_b32 v0, v1, s7, v0
	v_sub_u32_e32 v6, 0x3f1, v2
	v_or_b32_e32 v1, 0x1000, v0
	v_med3_i32 v6, v6, 0, 13
	v_lshrrev_b32_e32 v9, v6, v1
	v_lshlrev_b32_e32 v6, v6, v9
	v_cmp_ne_u32_e32 vcc, v6, v1
	v_cndmask_b32_e64 v1, 0, 1, vcc
	v_add_u32_e32 v2, 0xfffffc10, v2
	v_or_b32_e32 v1, v9, v1
	v_lshl_or_b32 v6, v2, 12, v0
	v_cmp_gt_i32_e32 vcc, 1, v2
	v_cndmask_b32_e32 v1, v6, v1, vcc
	v_and_b32_e32 v6, 7, v1
	v_cmp_lt_i32_e32 vcc, 5, v6
	v_cmp_eq_u32_e64 s[0:1], 3, v6
	v_lshrrev_b32_e32 v1, 2, v1
	s_or_b64 vcc, s[0:1], vcc
	v_addc_co_u32_e32 v1, vcc, 0, v1, vcc
	v_cmp_gt_i32_e32 vcc, 31, v2
	v_cndmask_b32_e32 v1, v8, v1, vcc
	v_cmp_ne_u32_e32 vcc, 0, v0
	v_cndmask_b32_e64 v0, 0, 1, vcc
	v_lshl_or_b32 v0, v0, 9, v8
	v_cmp_eq_u32_e32 vcc, s10, v2
	v_mad_u64_u32 v[9:10], s[0:1], s8, v75, 0
	v_cndmask_b32_e32 v12, v1, v0, vcc
	ds_read2_b32 v[0:1], v80 offset0:2 offset1:227
	v_mov_b32_e32 v2, v10
	v_lshrrev_b32_e32 v13, 16, v7
	v_mad_u64_u32 v[6:7], s[0:1], s9, v75, v[2:3]
	s_waitcnt lgkmcnt(0)
	v_lshrrev_b32_e32 v2, 16, v1
	v_mul_f16_sdwa v7, v74, v2 dst_sel:DWORD dst_unused:UNUSED_PAD src0_sel:WORD_1 src1_sel:DWORD
	v_fma_f16 v7, v74, v1, v7
	v_cvt_f32_f16_e32 v7, v7
	v_mov_b32_e32 v10, v6
	v_and_or_b32 v12, v13, s11, v12
	v_and_b32_e32 v11, 0xffff, v11
	v_cvt_f64_f32_e32 v[6:7], v7
	v_lshl_or_b32 v11, v12, 16, v11
	v_mov_b32_e32 v12, s5
	v_add_co_u32_e32 v13, vcc, s4, v4
	v_mul_f64 v[6:7], v[6:7], s[2:3]
	v_addc_co_u32_e32 v12, vcc, v12, v5, vcc
	v_lshlrev_b64 v[4:5], 2, v[9:10]
	v_mul_f16_sdwa v1, v74, v1 dst_sel:DWORD dst_unused:UNUSED_PAD src0_sel:WORD_1 src1_sel:DWORD
	v_add_co_u32_e32 v9, vcc, v13, v4
	v_addc_co_u32_e32 v10, vcc, v12, v5, vcc
	v_and_or_b32 v4, v7, s6, v6
	v_cmp_ne_u32_e32 vcc, 0, v4
	v_fma_f16 v1, v74, v2, -v1
	v_cndmask_b32_e64 v4, 0, 1, vcc
	v_lshrrev_b32_e32 v5, 8, v7
	v_bfe_u32 v6, v7, 20, 11
	v_cvt_f32_f16_e32 v1, v1
	global_store_dword v[9:10], v11, off
	v_and_or_b32 v4, v5, s7, v4
	v_sub_u32_e32 v11, 0x3f1, v6
	v_or_b32_e32 v5, 0x1000, v4
	v_med3_i32 v11, v11, 0, 13
	v_lshrrev_b32_e32 v12, v11, v5
	v_lshlrev_b32_e32 v11, v11, v12
	v_cvt_f64_f32_e32 v[1:2], v1
	v_cmp_ne_u32_e32 vcc, v11, v5
	v_cndmask_b32_e64 v5, 0, 1, vcc
	v_add_u32_e32 v6, 0xfffffc10, v6
	v_or_b32_e32 v5, v12, v5
	v_lshl_or_b32 v11, v6, 12, v4
	v_cmp_gt_i32_e32 vcc, 1, v6
	v_cndmask_b32_e32 v5, v11, v5, vcc
	v_mul_f64 v[1:2], v[1:2], s[2:3]
	v_and_b32_e32 v11, 7, v5
	v_cmp_lt_i32_e32 vcc, 5, v11
	v_cmp_eq_u32_e64 s[0:1], 3, v11
	v_lshrrev_b32_e32 v5, 2, v5
	s_or_b64 vcc, s[0:1], vcc
	v_addc_co_u32_e32 v5, vcc, 0, v5, vcc
	v_cmp_gt_i32_e32 vcc, 31, v6
	v_cndmask_b32_e32 v5, v8, v5, vcc
	v_cmp_ne_u32_e32 vcc, 0, v4
	v_cndmask_b32_e64 v4, 0, 1, vcc
	v_lshl_or_b32 v4, v4, 9, v8
	v_cmp_eq_u32_e32 vcc, s10, v6
	v_and_or_b32 v1, v2, s6, v1
	v_cndmask_b32_e32 v4, v5, v4, vcc
	v_lshrrev_b32_e32 v5, 16, v7
	v_cmp_ne_u32_e32 vcc, 0, v1
	v_and_or_b32 v6, v5, s11, v4
	v_cndmask_b32_e64 v1, 0, 1, vcc
	v_lshrrev_b32_e32 v4, 8, v2
	v_bfe_u32 v5, v2, 20, 11
	v_and_or_b32 v1, v4, s7, v1
	v_sub_u32_e32 v7, 0x3f1, v5
	v_or_b32_e32 v4, 0x1000, v1
	v_med3_i32 v7, v7, 0, 13
	v_lshrrev_b32_e32 v11, v7, v4
	v_lshlrev_b32_e32 v7, v7, v11
	v_cmp_ne_u32_e32 vcc, v7, v4
	v_cndmask_b32_e64 v4, 0, 1, vcc
	v_add_u32_e32 v7, 0xfffffc10, v5
	v_or_b32_e32 v4, v11, v4
	v_lshl_or_b32 v5, v7, 12, v1
	v_cmp_gt_i32_e32 vcc, 1, v7
	v_cndmask_b32_e32 v4, v5, v4, vcc
	v_and_b32_e32 v5, 7, v4
	v_cmp_lt_i32_e32 vcc, 5, v5
	v_cmp_eq_u32_e64 s[0:1], 3, v5
	v_lshrrev_b32_e32 v4, 2, v4
	s_or_b64 vcc, s[0:1], vcc
	v_addc_co_u32_e32 v4, vcc, 0, v4, vcc
	v_cmp_gt_i32_e32 vcc, 31, v7
	v_cndmask_b32_e32 v11, v8, v4, vcc
	ds_read2_b32 v[4:5], v79 offset0:6 offset1:231
	v_cmp_ne_u32_e32 vcc, 0, v1
	v_cndmask_b32_e64 v1, 0, 1, vcc
	v_lshl_or_b32 v1, v1, 9, v8
	v_cmp_eq_u32_e32 vcc, s10, v7
	v_cndmask_b32_e32 v1, v11, v1, vcc
	s_waitcnt lgkmcnt(0)
	v_lshrrev_b32_e32 v11, 16, v4
	v_mul_f16_sdwa v7, v72, v11 dst_sel:DWORD dst_unused:UNUSED_PAD src0_sel:WORD_1 src1_sel:DWORD
	v_fma_f16 v7, v72, v4, v7
	v_cvt_f32_f16_e32 v7, v7
	v_lshrrev_b32_e32 v2, 16, v2
	v_and_or_b32 v1, v2, s11, v1
	v_and_b32_e32 v2, 0xffff, v6
	v_lshl_or_b32 v12, v1, 16, v2
	v_cvt_f64_f32_e32 v[1:2], v7
	s_mul_i32 s0, s9, 0xa8c
	s_mul_hi_u32 s4, s8, 0xa8c
	s_add_i32 s4, s4, s0
	v_mul_f64 v[1:2], v[1:2], s[2:3]
	s_mul_i32 s5, s8, 0xa8c
	v_mov_b32_e32 v7, s4
	v_add_co_u32_e32 v6, vcc, s5, v9
	v_addc_co_u32_e32 v7, vcc, v10, v7, vcc
	global_store_dword v[6:7], v12, off
	v_and_or_b32 v1, v2, s6, v1
	v_cmp_ne_u32_e32 vcc, 0, v1
	v_cndmask_b32_e64 v1, 0, 1, vcc
	v_lshrrev_b32_e32 v9, 8, v2
	v_bfe_u32 v10, v2, 20, 11
	v_and_or_b32 v1, v9, s7, v1
	v_sub_u32_e32 v12, 0x3f1, v10
	v_or_b32_e32 v9, 0x1000, v1
	v_med3_i32 v12, v12, 0, 13
	v_lshrrev_b32_e32 v13, v12, v9
	v_lshlrev_b32_e32 v12, v12, v13
	v_mul_f16_sdwa v4, v72, v4 dst_sel:DWORD dst_unused:UNUSED_PAD src0_sel:WORD_1 src1_sel:DWORD
	v_cmp_ne_u32_e32 vcc, v12, v9
	v_fma_f16 v4, v72, v11, -v4
	v_cndmask_b32_e64 v9, 0, 1, vcc
	v_add_u32_e32 v12, 0xfffffc10, v10
	v_cvt_f32_f16_e32 v4, v4
	v_or_b32_e32 v9, v13, v9
	v_lshl_or_b32 v10, v12, 12, v1
	v_cmp_gt_i32_e32 vcc, 1, v12
	v_cndmask_b32_e32 v9, v10, v9, vcc
	v_and_b32_e32 v10, 7, v9
	v_cmp_lt_i32_e32 vcc, 5, v10
	v_cmp_eq_u32_e64 s[0:1], 3, v10
	v_lshrrev_b32_e32 v11, 2, v9
	v_cvt_f64_f32_e32 v[9:10], v4
	s_or_b64 vcc, s[0:1], vcc
	v_addc_co_u32_e32 v4, vcc, 0, v11, vcc
	v_mul_f64 v[9:10], v[9:10], s[2:3]
	v_cmp_gt_i32_e32 vcc, 31, v12
	v_cndmask_b32_e32 v4, v8, v4, vcc
	v_cmp_ne_u32_e32 vcc, 0, v1
	v_cndmask_b32_e64 v1, 0, 1, vcc
	v_lshl_or_b32 v1, v1, 9, v8
	v_cmp_eq_u32_e32 vcc, s10, v12
	v_cndmask_b32_e32 v1, v4, v1, vcc
	v_lshrrev_b32_e32 v2, 16, v2
	v_and_or_b32 v4, v2, s11, v1
	v_and_or_b32 v1, v10, s6, v9
	v_cmp_ne_u32_e32 vcc, 0, v1
	v_cndmask_b32_e64 v1, 0, 1, vcc
	v_lshrrev_b32_e32 v2, 8, v10
	v_and_or_b32 v9, v2, s7, v1
	v_bfe_u32 v2, v10, 20, 11
	v_sub_u32_e32 v11, 0x3f1, v2
	v_or_b32_e32 v1, 0x1000, v9
	v_med3_i32 v11, v11, 0, 13
	v_lshrrev_b32_e32 v12, v11, v1
	v_lshlrev_b32_e32 v11, v11, v12
	v_cmp_ne_u32_e32 vcc, v11, v1
	v_cndmask_b32_e64 v1, 0, 1, vcc
	v_add_u32_e32 v11, 0xfffffc10, v2
	v_or_b32_e32 v1, v12, v1
	v_lshl_or_b32 v2, v11, 12, v9
	v_cmp_gt_i32_e32 vcc, 1, v11
	v_cndmask_b32_e32 v1, v2, v1, vcc
	v_and_b32_e32 v2, 7, v1
	v_cmp_lt_i32_e32 vcc, 5, v2
	v_cmp_eq_u32_e64 s[0:1], 3, v2
	v_lshrrev_b32_e32 v1, 2, v1
	s_or_b64 vcc, s[0:1], vcc
	v_addc_co_u32_e32 v12, vcc, 0, v1, vcc
	ds_read2_b32 v[1:2], v78 offset0:8 offset1:233
	v_cmp_gt_i32_e32 vcc, 31, v11
	v_cndmask_b32_e32 v12, v8, v12, vcc
	v_cmp_ne_u32_e32 vcc, 0, v9
	v_cndmask_b32_e64 v9, 0, 1, vcc
	s_waitcnt lgkmcnt(0)
	v_lshrrev_b32_e32 v13, 16, v2
	v_mul_f16_sdwa v14, v73, v13 dst_sel:DWORD dst_unused:UNUSED_PAD src0_sel:WORD_1 src1_sel:DWORD
	v_fma_f16 v14, v73, v2, v14
	v_cvt_f32_f16_e32 v14, v14
	v_lshl_or_b32 v9, v9, 9, v8
	v_cmp_eq_u32_e32 vcc, s10, v11
	v_cndmask_b32_e32 v9, v12, v9, vcc
	v_cvt_f64_f32_e32 v[11:12], v14
	v_lshrrev_b32_e32 v10, 16, v10
	v_and_or_b32 v14, v10, s11, v9
	v_and_b32_e32 v4, 0xffff, v4
	v_mul_f64 v[9:10], v[11:12], s[2:3]
	v_mov_b32_e32 v12, s4
	v_add_co_u32_e32 v11, vcc, s5, v6
	v_lshl_or_b32 v4, v14, 16, v4
	v_addc_co_u32_e32 v12, vcc, v7, v12, vcc
	global_store_dword v[11:12], v4, off
	v_and_or_b32 v4, v10, s6, v9
	v_cmp_ne_u32_e32 vcc, 0, v4
	v_cndmask_b32_e64 v4, 0, 1, vcc
	v_lshrrev_b32_e32 v6, 8, v10
	v_bfe_u32 v7, v10, 20, 11
	v_and_or_b32 v4, v6, s7, v4
	v_sub_u32_e32 v9, 0x3f1, v7
	v_or_b32_e32 v6, 0x1000, v4
	v_med3_i32 v9, v9, 0, 13
	v_lshrrev_b32_e32 v14, v9, v6
	v_lshlrev_b32_e32 v9, v9, v14
	v_mul_f16_sdwa v2, v73, v2 dst_sel:DWORD dst_unused:UNUSED_PAD src0_sel:WORD_1 src1_sel:DWORD
	v_cmp_ne_u32_e32 vcc, v9, v6
	v_fma_f16 v2, v73, v13, -v2
	v_cndmask_b32_e64 v6, 0, 1, vcc
	v_add_u32_e32 v9, 0xfffffc10, v7
	v_cvt_f32_f16_e32 v2, v2
	v_or_b32_e32 v6, v14, v6
	v_lshl_or_b32 v7, v9, 12, v4
	v_cmp_gt_i32_e32 vcc, 1, v9
	v_cndmask_b32_e32 v6, v7, v6, vcc
	v_and_b32_e32 v7, 7, v6
	v_cmp_lt_i32_e32 vcc, 5, v7
	v_cmp_eq_u32_e64 s[0:1], 3, v7
	v_lshrrev_b32_e32 v13, 2, v6
	v_cvt_f64_f32_e32 v[6:7], v2
	s_or_b64 vcc, s[0:1], vcc
	v_addc_co_u32_e32 v2, vcc, 0, v13, vcc
	v_mul_f64 v[13:14], v[6:7], s[2:3]
	v_cmp_gt_i32_e32 vcc, 31, v9
	v_cndmask_b32_e32 v2, v8, v2, vcc
	v_cmp_ne_u32_e32 vcc, 0, v4
	v_cndmask_b32_e64 v4, 0, 1, vcc
	v_lshl_or_b32 v4, v4, 9, v8
	v_cmp_eq_u32_e32 vcc, s10, v9
	v_cndmask_b32_e32 v2, v2, v4, vcc
	v_lshrrev_b32_e32 v4, 16, v10
	v_and_or_b32 v2, v4, s11, v2
	v_and_or_b32 v4, v14, s6, v13
	v_cmp_ne_u32_e32 vcc, 0, v4
	v_cndmask_b32_e64 v4, 0, 1, vcc
	v_lshrrev_b32_e32 v6, 8, v14
	v_bfe_u32 v7, v14, 20, 11
	v_and_or_b32 v4, v6, s7, v4
	v_sub_u32_e32 v9, 0x3f1, v7
	v_or_b32_e32 v6, 0x1000, v4
	v_med3_i32 v9, v9, 0, 13
	v_lshrrev_b32_e32 v10, v9, v6
	v_lshlrev_b32_e32 v9, v9, v10
	v_cmp_ne_u32_e32 vcc, v9, v6
	v_cndmask_b32_e64 v6, 0, 1, vcc
	v_add_u32_e32 v9, 0xfffffc10, v7
	v_or_b32_e32 v6, v10, v6
	v_lshl_or_b32 v7, v9, 12, v4
	v_cmp_gt_i32_e32 vcc, 1, v9
	v_cndmask_b32_e32 v6, v7, v6, vcc
	v_and_b32_e32 v7, 7, v6
	v_cmp_lt_i32_e32 vcc, 5, v7
	v_cmp_eq_u32_e64 s[0:1], 3, v7
	v_lshrrev_b32_e32 v6, 2, v6
	s_or_b64 vcc, s[0:1], vcc
	v_addc_co_u32_e32 v10, vcc, 0, v6, vcc
	ds_read2_b32 v[6:7], v76 offset0:12 offset1:237
	v_cmp_gt_i32_e32 vcc, 31, v9
	v_cndmask_b32_e32 v10, v8, v10, vcc
	v_cmp_ne_u32_e32 vcc, 0, v4
	v_cndmask_b32_e64 v4, 0, 1, vcc
	s_waitcnt lgkmcnt(0)
	v_lshrrev_b32_e32 v13, 16, v6
	v_mul_f16_sdwa v15, v70, v13 dst_sel:DWORD dst_unused:UNUSED_PAD src0_sel:WORD_1 src1_sel:DWORD
	v_fma_f16 v15, v70, v6, v15
	v_cvt_f32_f16_e32 v15, v15
	v_lshl_or_b32 v4, v4, 9, v8
	v_cmp_eq_u32_e32 vcc, s10, v9
	v_cndmask_b32_e32 v4, v10, v4, vcc
	v_cvt_f64_f32_e32 v[9:10], v15
	v_lshrrev_b32_e32 v14, 16, v14
	v_and_or_b32 v4, v14, s11, v4
	v_and_b32_e32 v2, 0xffff, v2
	v_mul_f64 v[9:10], v[9:10], s[2:3]
	v_lshl_or_b32 v2, v4, 16, v2
	v_mov_b32_e32 v4, s4
	v_add_co_u32_e32 v11, vcc, s5, v11
	v_addc_co_u32_e32 v12, vcc, v12, v4, vcc
	global_store_dword v[11:12], v2, off
	v_and_or_b32 v2, v10, s6, v9
	v_cmp_ne_u32_e32 vcc, 0, v2
	v_cndmask_b32_e64 v2, 0, 1, vcc
	v_lshrrev_b32_e32 v4, 8, v10
	v_bfe_u32 v9, v10, 20, 11
	v_and_or_b32 v2, v4, s7, v2
	v_sub_u32_e32 v14, 0x3f1, v9
	v_or_b32_e32 v4, 0x1000, v2
	v_med3_i32 v14, v14, 0, 13
	v_lshrrev_b32_e32 v15, v14, v4
	v_lshlrev_b32_e32 v14, v14, v15
	v_mul_f16_sdwa v6, v70, v6 dst_sel:DWORD dst_unused:UNUSED_PAD src0_sel:WORD_1 src1_sel:DWORD
	v_cmp_ne_u32_e32 vcc, v14, v4
	v_fma_f16 v6, v70, v13, -v6
	v_cndmask_b32_e64 v4, 0, 1, vcc
	v_add_u32_e32 v9, 0xfffffc10, v9
	v_cvt_f32_f16_e32 v6, v6
	v_or_b32_e32 v4, v15, v4
	v_lshl_or_b32 v14, v9, 12, v2
	v_cmp_gt_i32_e32 vcc, 1, v9
	v_cndmask_b32_e32 v4, v14, v4, vcc
	v_and_b32_e32 v14, 7, v4
	v_cmp_lt_i32_e32 vcc, 5, v14
	v_cmp_eq_u32_e64 s[0:1], 3, v14
	v_cvt_f64_f32_e32 v[13:14], v6
	v_lshrrev_b32_e32 v4, 2, v4
	s_or_b64 vcc, s[0:1], vcc
	v_addc_co_u32_e32 v4, vcc, 0, v4, vcc
	v_mul_f64 v[13:14], v[13:14], s[2:3]
	v_cmp_gt_i32_e32 vcc, 31, v9
	v_cndmask_b32_e32 v4, v8, v4, vcc
	v_cmp_ne_u32_e32 vcc, 0, v2
	v_cndmask_b32_e64 v2, 0, 1, vcc
	v_lshl_or_b32 v2, v2, 9, v8
	v_cmp_eq_u32_e32 vcc, s10, v9
	v_cndmask_b32_e32 v2, v4, v2, vcc
	v_lshrrev_b32_e32 v4, 16, v10
	v_and_or_b32 v2, v4, s11, v2
	v_and_or_b32 v4, v14, s6, v13
	v_cmp_ne_u32_e32 vcc, 0, v4
	v_cndmask_b32_e64 v4, 0, 1, vcc
	v_lshrrev_b32_e32 v6, 8, v14
	v_bfe_u32 v9, v14, 20, 11
	v_and_or_b32 v4, v6, s7, v4
	v_sub_u32_e32 v10, 0x3f1, v9
	v_or_b32_e32 v6, 0x1000, v4
	v_med3_i32 v10, v10, 0, 13
	v_lshrrev_b32_e32 v13, v10, v6
	v_lshlrev_b32_e32 v10, v10, v13
	v_cmp_ne_u32_e32 vcc, v10, v6
	v_cndmask_b32_e64 v6, 0, 1, vcc
	v_add_u32_e32 v9, 0xfffffc10, v9
	v_or_b32_e32 v6, v13, v6
	v_lshl_or_b32 v10, v9, 12, v4
	v_cmp_gt_i32_e32 vcc, 1, v9
	v_cndmask_b32_e32 v6, v10, v6, vcc
	v_and_b32_e32 v10, 7, v6
	v_lshrrev_b32_e32 v13, 16, v3
	v_cmp_lt_i32_e32 vcc, 5, v10
	v_cmp_eq_u32_e64 s[0:1], 3, v10
	v_mul_f16_sdwa v10, v68, v13 dst_sel:DWORD dst_unused:UNUSED_PAD src0_sel:WORD_1 src1_sel:DWORD
	v_fma_f16 v10, v68, v3, v10
	v_lshrrev_b32_e32 v6, 2, v6
	s_or_b64 vcc, s[0:1], vcc
	v_cvt_f32_f16_e32 v10, v10
	v_addc_co_u32_e32 v6, vcc, 0, v6, vcc
	v_cmp_gt_i32_e32 vcc, 31, v9
	v_cndmask_b32_e32 v6, v8, v6, vcc
	v_cmp_ne_u32_e32 vcc, 0, v4
	v_cndmask_b32_e64 v4, 0, 1, vcc
	v_cmp_eq_u32_e32 vcc, s10, v9
	v_cvt_f64_f32_e32 v[9:10], v10
	v_lshl_or_b32 v4, v4, 9, v8
	v_cndmask_b32_e32 v4, v6, v4, vcc
	v_lshrrev_b32_e32 v6, 16, v14
	v_mul_f64 v[9:10], v[9:10], s[2:3]
	v_and_or_b32 v4, v6, s11, v4
	v_and_b32_e32 v2, 0xffff, v2
	v_lshl_or_b32 v2, v4, 16, v2
	v_mov_b32_e32 v4, s4
	v_add_co_u32_e32 v11, vcc, s5, v11
	v_addc_co_u32_e32 v12, vcc, v12, v4, vcc
	global_store_dword v[11:12], v2, off
	v_and_or_b32 v2, v10, s6, v9
	v_cmp_ne_u32_e32 vcc, 0, v2
	v_cndmask_b32_e64 v2, 0, 1, vcc
	v_lshrrev_b32_e32 v4, 8, v10
	v_and_or_b32 v6, v4, s7, v2
	v_bfe_u32 v4, v10, 20, 11
	v_sub_u32_e32 v9, 0x3f1, v4
	v_or_b32_e32 v2, 0x1000, v6
	v_med3_i32 v9, v9, 0, 13
	v_lshrrev_b32_e32 v14, v9, v2
	v_lshlrev_b32_e32 v9, v9, v14
	v_mul_f16_sdwa v3, v68, v3 dst_sel:DWORD dst_unused:UNUSED_PAD src0_sel:WORD_1 src1_sel:DWORD
	v_cmp_ne_u32_e32 vcc, v9, v2
	v_fma_f16 v3, v68, v13, -v3
	v_cndmask_b32_e64 v2, 0, 1, vcc
	v_add_u32_e32 v9, 0xfffffc10, v4
	v_cvt_f32_f16_e32 v3, v3
	v_or_b32_e32 v2, v14, v2
	v_lshl_or_b32 v4, v9, 12, v6
	v_cmp_gt_i32_e32 vcc, 1, v9
	v_cndmask_b32_e32 v2, v4, v2, vcc
	v_and_b32_e32 v4, 7, v2
	v_cmp_lt_i32_e32 vcc, 5, v4
	v_cmp_eq_u32_e64 s[0:1], 3, v4
	v_lshrrev_b32_e32 v4, 2, v2
	v_cvt_f64_f32_e32 v[2:3], v3
	s_or_b64 vcc, s[0:1], vcc
	v_addc_co_u32_e32 v4, vcc, 0, v4, vcc
	v_cmp_gt_i32_e32 vcc, 31, v9
	v_cndmask_b32_e32 v13, v8, v4, vcc
	v_mul_f64 v[3:4], v[2:3], s[2:3]
	v_cmp_ne_u32_e32 vcc, 0, v6
	v_cndmask_b32_e64 v2, 0, 1, vcc
	v_lshl_or_b32 v2, v2, 9, v8
	v_cmp_eq_u32_e32 vcc, s10, v9
	v_cndmask_b32_e32 v2, v13, v2, vcc
	v_lshrrev_b32_e32 v6, 16, v10
	v_and_or_b32 v6, v6, s11, v2
	v_and_or_b32 v2, v4, s6, v3
	v_cmp_ne_u32_e32 vcc, 0, v2
	v_cndmask_b32_e64 v2, 0, 1, vcc
	v_lshrrev_b32_e32 v3, 8, v4
	v_and_or_b32 v9, v3, s7, v2
	v_bfe_u32 v3, v4, 20, 11
	v_sub_u32_e32 v10, 0x3f1, v3
	v_or_b32_e32 v2, 0x1000, v9
	v_med3_i32 v10, v10, 0, 13
	v_lshrrev_b32_e32 v13, v10, v2
	v_lshlrev_b32_e32 v10, v10, v13
	v_cmp_ne_u32_e32 vcc, v10, v2
	v_cndmask_b32_e64 v2, 0, 1, vcc
	v_add_u32_e32 v10, 0xfffffc10, v3
	v_or_b32_e32 v2, v13, v2
	v_lshl_or_b32 v3, v10, 12, v9
	v_cmp_gt_i32_e32 vcc, 1, v10
	v_cndmask_b32_e32 v2, v3, v2, vcc
	v_and_b32_e32 v3, 7, v2
	v_cmp_lt_i32_e32 vcc, 5, v3
	v_cmp_eq_u32_e64 s[0:1], 3, v3
	v_lshrrev_b32_e32 v2, 2, v2
	s_or_b64 vcc, s[0:1], vcc
	v_addc_co_u32_e32 v13, vcc, 0, v2, vcc
	ds_read2_b32 v[2:3], v71 offset0:4 offset1:229
	v_cmp_gt_i32_e32 vcc, 31, v10
	v_cndmask_b32_e32 v13, v8, v13, vcc
	v_cmp_ne_u32_e32 vcc, 0, v9
	v_cndmask_b32_e64 v9, 0, 1, vcc
	s_waitcnt lgkmcnt(0)
	v_lshrrev_b32_e32 v14, 16, v2
	v_mul_f16_sdwa v15, v66, v14 dst_sel:DWORD dst_unused:UNUSED_PAD src0_sel:WORD_1 src1_sel:DWORD
	v_fma_f16 v15, v66, v2, v15
	v_cvt_f32_f16_e32 v15, v15
	v_lshl_or_b32 v9, v9, 9, v8
	v_cmp_eq_u32_e32 vcc, s10, v10
	v_cndmask_b32_e32 v13, v13, v9, vcc
	v_cvt_f64_f32_e32 v[9:10], v15
	v_mad_u64_u32 v[11:12], s[0:1], s8, v60, v[11:12]
	v_lshrrev_b32_e32 v4, 16, v4
	v_mul_f64 v[9:10], v[9:10], s[2:3]
	s_mul_i32 s0, s9, 0xffffd954
	v_and_or_b32 v4, v4, s11, v13
	v_and_b32_e32 v6, 0xffff, v6
	s_sub_i32 s9, s0, s8
	v_lshl_or_b32 v4, v4, 16, v6
	v_add_u32_e32 v12, s9, v12
	global_store_dword v[11:12], v4, off
	v_and_or_b32 v4, v10, s6, v9
	v_cmp_ne_u32_e32 vcc, 0, v4
	v_cndmask_b32_e64 v4, 0, 1, vcc
	v_lshrrev_b32_e32 v6, 8, v10
	v_bfe_u32 v9, v10, 20, 11
	v_and_or_b32 v4, v6, s7, v4
	v_sub_u32_e32 v13, 0x3f1, v9
	v_or_b32_e32 v6, 0x1000, v4
	v_med3_i32 v13, v13, 0, 13
	v_lshrrev_b32_e32 v15, v13, v6
	v_lshlrev_b32_e32 v13, v13, v15
	v_mul_f16_sdwa v2, v66, v2 dst_sel:DWORD dst_unused:UNUSED_PAD src0_sel:WORD_1 src1_sel:DWORD
	v_cmp_ne_u32_e32 vcc, v13, v6
	v_fma_f16 v2, v66, v14, -v2
	v_cndmask_b32_e64 v6, 0, 1, vcc
	v_add_u32_e32 v9, 0xfffffc10, v9
	v_cvt_f32_f16_e32 v2, v2
	v_or_b32_e32 v6, v15, v6
	v_lshl_or_b32 v13, v9, 12, v4
	v_cmp_gt_i32_e32 vcc, 1, v9
	v_cndmask_b32_e32 v6, v13, v6, vcc
	v_and_b32_e32 v13, 7, v6
	v_cmp_lt_i32_e32 vcc, 5, v13
	v_cmp_eq_u32_e64 s[0:1], 3, v13
	v_cvt_f64_f32_e32 v[13:14], v2
	v_lshrrev_b32_e32 v6, 2, v6
	s_or_b64 vcc, s[0:1], vcc
	v_addc_co_u32_e32 v2, vcc, 0, v6, vcc
	v_mul_f64 v[13:14], v[13:14], s[2:3]
	v_cmp_gt_i32_e32 vcc, 31, v9
	v_cndmask_b32_e32 v2, v8, v2, vcc
	v_cmp_ne_u32_e32 vcc, 0, v4
	v_cndmask_b32_e64 v4, 0, 1, vcc
	v_lshl_or_b32 v4, v4, 9, v8
	v_cmp_eq_u32_e32 vcc, s10, v9
	v_cndmask_b32_e32 v2, v2, v4, vcc
	v_lshrrev_b32_e32 v4, 16, v10
	v_and_or_b32 v2, v4, s11, v2
	v_and_or_b32 v4, v14, s6, v13
	v_cmp_ne_u32_e32 vcc, 0, v4
	v_cndmask_b32_e64 v4, 0, 1, vcc
	v_lshrrev_b32_e32 v6, 8, v14
	v_bfe_u32 v9, v14, 20, 11
	v_and_or_b32 v4, v6, s7, v4
	v_sub_u32_e32 v10, 0x3f1, v9
	v_or_b32_e32 v6, 0x1000, v4
	v_med3_i32 v10, v10, 0, 13
	v_lshrrev_b32_e32 v13, v10, v6
	v_lshlrev_b32_e32 v10, v10, v13
	v_cmp_ne_u32_e32 vcc, v10, v6
	v_cndmask_b32_e64 v6, 0, 1, vcc
	v_add_u32_e32 v9, 0xfffffc10, v9
	v_or_b32_e32 v6, v13, v6
	v_lshl_or_b32 v10, v9, 12, v4
	v_cmp_gt_i32_e32 vcc, 1, v9
	v_cndmask_b32_e32 v6, v10, v6, vcc
	v_and_b32_e32 v10, 7, v6
	v_lshrrev_b32_e32 v13, 16, v5
	v_cmp_lt_i32_e32 vcc, 5, v10
	v_cmp_eq_u32_e64 s[0:1], 3, v10
	v_mul_f16_sdwa v10, v67, v13 dst_sel:DWORD dst_unused:UNUSED_PAD src0_sel:WORD_1 src1_sel:DWORD
	v_fma_f16 v10, v67, v5, v10
	v_lshrrev_b32_e32 v6, 2, v6
	s_or_b64 vcc, s[0:1], vcc
	v_cvt_f32_f16_e32 v10, v10
	v_addc_co_u32_e32 v6, vcc, 0, v6, vcc
	v_cmp_gt_i32_e32 vcc, 31, v9
	v_cndmask_b32_e32 v6, v8, v6, vcc
	v_cmp_ne_u32_e32 vcc, 0, v4
	v_cndmask_b32_e64 v4, 0, 1, vcc
	v_cmp_eq_u32_e32 vcc, s10, v9
	v_cvt_f64_f32_e32 v[9:10], v10
	v_lshl_or_b32 v4, v4, 9, v8
	v_cndmask_b32_e32 v4, v6, v4, vcc
	v_lshrrev_b32_e32 v6, 16, v14
	v_mul_f64 v[9:10], v[9:10], s[2:3]
	v_and_or_b32 v4, v6, s11, v4
	v_and_b32_e32 v2, 0xffff, v2
	v_lshl_or_b32 v2, v4, 16, v2
	v_mov_b32_e32 v4, s4
	v_add_co_u32_e32 v11, vcc, s5, v11
	v_addc_co_u32_e32 v12, vcc, v12, v4, vcc
	global_store_dword v[11:12], v2, off
	v_and_or_b32 v2, v10, s6, v9
	v_cmp_ne_u32_e32 vcc, 0, v2
	v_cndmask_b32_e64 v2, 0, 1, vcc
	v_lshrrev_b32_e32 v4, 8, v10
	v_bfe_u32 v6, v10, 20, 11
	v_and_or_b32 v2, v4, s7, v2
	v_sub_u32_e32 v9, 0x3f1, v6
	v_or_b32_e32 v4, 0x1000, v2
	v_med3_i32 v9, v9, 0, 13
	v_lshrrev_b32_e32 v14, v9, v4
	v_lshlrev_b32_e32 v9, v9, v14
	v_mul_f16_sdwa v5, v67, v5 dst_sel:DWORD dst_unused:UNUSED_PAD src0_sel:WORD_1 src1_sel:DWORD
	v_cmp_ne_u32_e32 vcc, v9, v4
	v_fma_f16 v5, v67, v13, -v5
	v_cndmask_b32_e64 v4, 0, 1, vcc
	v_add_u32_e32 v9, 0xfffffc10, v6
	v_cvt_f32_f16_e32 v5, v5
	v_or_b32_e32 v4, v14, v4
	v_lshl_or_b32 v6, v9, 12, v2
	v_cmp_gt_i32_e32 vcc, 1, v9
	v_cndmask_b32_e32 v4, v6, v4, vcc
	v_and_b32_e32 v6, 7, v4
	v_cmp_lt_i32_e32 vcc, 5, v6
	v_cmp_eq_u32_e64 s[0:1], 3, v6
	v_lshrrev_b32_e32 v6, 2, v4
	v_cvt_f64_f32_e32 v[4:5], v5
	s_or_b64 vcc, s[0:1], vcc
	v_addc_co_u32_e32 v6, vcc, 0, v6, vcc
	v_cmp_gt_i32_e32 vcc, 31, v9
	v_cndmask_b32_e32 v13, v8, v6, vcc
	v_mul_f64 v[5:6], v[4:5], s[2:3]
	v_cmp_ne_u32_e32 vcc, 0, v2
	v_cndmask_b32_e64 v2, 0, 1, vcc
	v_lshl_or_b32 v2, v2, 9, v8
	v_cmp_eq_u32_e32 vcc, s10, v9
	v_cndmask_b32_e32 v2, v13, v2, vcc
	v_lshrrev_b32_e32 v4, 16, v10
	v_and_or_b32 v2, v4, s11, v2
	v_and_or_b32 v4, v6, s6, v5
	v_cmp_ne_u32_e32 vcc, 0, v4
	v_cndmask_b32_e64 v4, 0, 1, vcc
	v_lshrrev_b32_e32 v5, 8, v6
	v_and_or_b32 v9, v5, s7, v4
	v_bfe_u32 v5, v6, 20, 11
	v_sub_u32_e32 v10, 0x3f1, v5
	v_or_b32_e32 v4, 0x1000, v9
	v_med3_i32 v10, v10, 0, 13
	v_lshrrev_b32_e32 v13, v10, v4
	v_lshlrev_b32_e32 v10, v10, v13
	v_cmp_ne_u32_e32 vcc, v10, v4
	v_cndmask_b32_e64 v4, 0, 1, vcc
	v_add_u32_e32 v10, 0xfffffc10, v5
	v_or_b32_e32 v4, v13, v4
	v_lshl_or_b32 v5, v10, 12, v9
	v_cmp_gt_i32_e32 vcc, 1, v10
	v_cndmask_b32_e32 v4, v5, v4, vcc
	v_and_b32_e32 v5, 7, v4
	v_cmp_lt_i32_e32 vcc, 5, v5
	v_cmp_eq_u32_e64 s[0:1], 3, v5
	v_lshrrev_b32_e32 v4, 2, v4
	s_or_b64 vcc, s[0:1], vcc
	v_addc_co_u32_e32 v13, vcc, 0, v4, vcc
	ds_read2_b32 v[4:5], v69 offset0:10 offset1:235
	v_cmp_gt_i32_e32 vcc, 31, v10
	v_cndmask_b32_e32 v13, v8, v13, vcc
	v_cmp_ne_u32_e32 vcc, 0, v9
	v_cndmask_b32_e64 v9, 0, 1, vcc
	s_waitcnt lgkmcnt(0)
	v_lshrrev_b32_e32 v14, 16, v4
	v_mul_f16_sdwa v15, v65, v14 dst_sel:DWORD dst_unused:UNUSED_PAD src0_sel:WORD_1 src1_sel:DWORD
	v_fma_f16 v15, v65, v4, v15
	v_cvt_f32_f16_e32 v15, v15
	v_lshl_or_b32 v9, v9, 9, v8
	v_cmp_eq_u32_e32 vcc, s10, v10
	v_cndmask_b32_e32 v13, v13, v9, vcc
	v_cvt_f64_f32_e32 v[9:10], v15
	v_lshrrev_b32_e32 v6, 16, v6
	v_and_or_b32 v6, v6, s11, v13
	v_and_b32_e32 v2, 0xffff, v2
	v_mul_f64 v[9:10], v[9:10], s[2:3]
	v_lshl_or_b32 v2, v6, 16, v2
	v_mov_b32_e32 v6, s4
	v_add_co_u32_e32 v11, vcc, s5, v11
	v_addc_co_u32_e32 v12, vcc, v12, v6, vcc
	global_store_dword v[11:12], v2, off
	v_and_or_b32 v2, v10, s6, v9
	v_cmp_ne_u32_e32 vcc, 0, v2
	v_cndmask_b32_e64 v2, 0, 1, vcc
	v_lshrrev_b32_e32 v6, 8, v10
	v_bfe_u32 v9, v10, 20, 11
	v_and_or_b32 v2, v6, s7, v2
	v_sub_u32_e32 v13, 0x3f1, v9
	v_or_b32_e32 v6, 0x1000, v2
	v_med3_i32 v13, v13, 0, 13
	v_lshrrev_b32_e32 v15, v13, v6
	v_lshlrev_b32_e32 v13, v13, v15
	v_mul_f16_sdwa v4, v65, v4 dst_sel:DWORD dst_unused:UNUSED_PAD src0_sel:WORD_1 src1_sel:DWORD
	v_cmp_ne_u32_e32 vcc, v13, v6
	v_fma_f16 v4, v65, v14, -v4
	v_cndmask_b32_e64 v6, 0, 1, vcc
	v_add_u32_e32 v9, 0xfffffc10, v9
	v_cvt_f32_f16_e32 v4, v4
	v_or_b32_e32 v6, v15, v6
	v_lshl_or_b32 v13, v9, 12, v2
	v_cmp_gt_i32_e32 vcc, 1, v9
	v_cndmask_b32_e32 v6, v13, v6, vcc
	v_and_b32_e32 v13, 7, v6
	v_cmp_lt_i32_e32 vcc, 5, v13
	v_cmp_eq_u32_e64 s[0:1], 3, v13
	v_cvt_f64_f32_e32 v[13:14], v4
	v_lshrrev_b32_e32 v6, 2, v6
	s_or_b64 vcc, s[0:1], vcc
	v_addc_co_u32_e32 v4, vcc, 0, v6, vcc
	v_mul_f64 v[13:14], v[13:14], s[2:3]
	v_cmp_gt_i32_e32 vcc, 31, v9
	v_cndmask_b32_e32 v4, v8, v4, vcc
	v_cmp_ne_u32_e32 vcc, 0, v2
	v_cndmask_b32_e64 v2, 0, 1, vcc
	v_lshl_or_b32 v2, v2, 9, v8
	v_cmp_eq_u32_e32 vcc, s10, v9
	v_cndmask_b32_e32 v2, v4, v2, vcc
	v_lshrrev_b32_e32 v4, 16, v10
	v_and_or_b32 v2, v4, s11, v2
	v_and_or_b32 v4, v14, s6, v13
	v_cmp_ne_u32_e32 vcc, 0, v4
	v_cndmask_b32_e64 v4, 0, 1, vcc
	v_lshrrev_b32_e32 v6, 8, v14
	v_bfe_u32 v9, v14, 20, 11
	v_and_or_b32 v4, v6, s7, v4
	v_sub_u32_e32 v10, 0x3f1, v9
	v_or_b32_e32 v6, 0x1000, v4
	v_med3_i32 v10, v10, 0, 13
	v_lshrrev_b32_e32 v13, v10, v6
	v_lshlrev_b32_e32 v10, v10, v13
	v_cmp_ne_u32_e32 vcc, v10, v6
	v_cndmask_b32_e64 v6, 0, 1, vcc
	v_add_u32_e32 v9, 0xfffffc10, v9
	v_or_b32_e32 v6, v13, v6
	v_lshl_or_b32 v10, v9, 12, v4
	v_cmp_gt_i32_e32 vcc, 1, v9
	v_cndmask_b32_e32 v6, v10, v6, vcc
	v_and_b32_e32 v10, 7, v6
	v_lshrrev_b32_e32 v13, 16, v7
	v_cmp_lt_i32_e32 vcc, 5, v10
	v_cmp_eq_u32_e64 s[0:1], 3, v10
	v_mul_f16_sdwa v10, v64, v13 dst_sel:DWORD dst_unused:UNUSED_PAD src0_sel:WORD_1 src1_sel:DWORD
	v_fma_f16 v10, v64, v7, v10
	v_lshrrev_b32_e32 v6, 2, v6
	s_or_b64 vcc, s[0:1], vcc
	v_cvt_f32_f16_e32 v10, v10
	v_addc_co_u32_e32 v6, vcc, 0, v6, vcc
	v_cmp_gt_i32_e32 vcc, 31, v9
	v_cndmask_b32_e32 v6, v8, v6, vcc
	v_cmp_ne_u32_e32 vcc, 0, v4
	v_cndmask_b32_e64 v4, 0, 1, vcc
	v_cmp_eq_u32_e32 vcc, s10, v9
	v_cvt_f64_f32_e32 v[9:10], v10
	v_lshl_or_b32 v4, v4, 9, v8
	v_cndmask_b32_e32 v4, v6, v4, vcc
	v_lshrrev_b32_e32 v6, 16, v14
	v_mul_f64 v[9:10], v[9:10], s[2:3]
	v_and_or_b32 v4, v6, s11, v4
	v_and_b32_e32 v2, 0xffff, v2
	v_lshl_or_b32 v2, v4, 16, v2
	v_mov_b32_e32 v4, s4
	v_add_co_u32_e32 v11, vcc, s5, v11
	v_addc_co_u32_e32 v12, vcc, v12, v4, vcc
	global_store_dword v[11:12], v2, off
	v_and_or_b32 v2, v10, s6, v9
	v_cmp_ne_u32_e32 vcc, 0, v2
	v_cndmask_b32_e64 v2, 0, 1, vcc
	v_lshrrev_b32_e32 v4, 8, v10
	v_bfe_u32 v6, v10, 20, 11
	v_and_or_b32 v2, v4, s7, v2
	v_sub_u32_e32 v9, 0x3f1, v6
	v_or_b32_e32 v4, 0x1000, v2
	v_med3_i32 v9, v9, 0, 13
	v_lshrrev_b32_e32 v14, v9, v4
	v_lshlrev_b32_e32 v9, v9, v14
	v_mul_f16_sdwa v7, v64, v7 dst_sel:DWORD dst_unused:UNUSED_PAD src0_sel:WORD_1 src1_sel:DWORD
	v_cmp_ne_u32_e32 vcc, v9, v4
	v_fma_f16 v7, v64, v13, -v7
	v_cndmask_b32_e64 v4, 0, 1, vcc
	v_add_u32_e32 v9, 0xfffffc10, v6
	v_cvt_f32_f16_e32 v7, v7
	v_or_b32_e32 v4, v14, v4
	v_lshl_or_b32 v6, v9, 12, v2
	v_cmp_gt_i32_e32 vcc, 1, v9
	v_cndmask_b32_e32 v4, v6, v4, vcc
	v_and_b32_e32 v6, 7, v4
	v_cmp_lt_i32_e32 vcc, 5, v6
	v_cmp_eq_u32_e64 s[0:1], 3, v6
	v_cvt_f64_f32_e32 v[6:7], v7
	v_lshrrev_b32_e32 v4, 2, v4
	s_or_b64 vcc, s[0:1], vcc
	v_addc_co_u32_e32 v4, vcc, 0, v4, vcc
	v_mul_f64 v[6:7], v[6:7], s[2:3]
	v_cmp_gt_i32_e32 vcc, 31, v9
	v_cndmask_b32_e32 v4, v8, v4, vcc
	v_cmp_ne_u32_e32 vcc, 0, v2
	v_cndmask_b32_e64 v2, 0, 1, vcc
	v_lshl_or_b32 v2, v2, 9, v8
	v_cmp_eq_u32_e32 vcc, s10, v9
	v_cndmask_b32_e32 v2, v4, v2, vcc
	v_lshrrev_b32_e32 v4, 16, v10
	v_and_or_b32 v2, v4, s11, v2
	v_and_or_b32 v4, v7, s6, v6
	v_cmp_ne_u32_e32 vcc, 0, v4
	v_cndmask_b32_e64 v4, 0, 1, vcc
	v_lshrrev_b32_e32 v6, 8, v7
	v_bfe_u32 v9, v7, 20, 11
	v_and_or_b32 v4, v6, s7, v4
	v_sub_u32_e32 v10, 0x3f1, v9
	v_or_b32_e32 v6, 0x1000, v4
	v_med3_i32 v10, v10, 0, 13
	v_lshrrev_b32_e32 v13, v10, v6
	v_lshlrev_b32_e32 v10, v10, v13
	v_cmp_ne_u32_e32 vcc, v10, v6
	v_cndmask_b32_e64 v6, 0, 1, vcc
	v_add_u32_e32 v9, 0xfffffc10, v9
	v_or_b32_e32 v6, v13, v6
	v_lshl_or_b32 v10, v9, 12, v4
	v_cmp_gt_i32_e32 vcc, 1, v9
	v_cndmask_b32_e32 v6, v10, v6, vcc
	v_and_b32_e32 v10, 7, v6
	v_lshrrev_b32_e32 v13, 16, v0
	v_cmp_lt_i32_e32 vcc, 5, v10
	v_cmp_eq_u32_e64 s[0:1], 3, v10
	v_mul_f16_sdwa v10, v63, v13 dst_sel:DWORD dst_unused:UNUSED_PAD src0_sel:WORD_1 src1_sel:DWORD
	v_fma_f16 v10, v63, v0, v10
	v_lshrrev_b32_e32 v6, 2, v6
	s_or_b64 vcc, s[0:1], vcc
	v_cvt_f32_f16_e32 v10, v10
	v_addc_co_u32_e32 v6, vcc, 0, v6, vcc
	v_cmp_gt_i32_e32 vcc, 31, v9
	v_cndmask_b32_e32 v6, v8, v6, vcc
	v_cmp_ne_u32_e32 vcc, 0, v4
	v_cndmask_b32_e64 v4, 0, 1, vcc
	v_cmp_eq_u32_e32 vcc, s10, v9
	v_cvt_f64_f32_e32 v[9:10], v10
	v_lshl_or_b32 v4, v4, 9, v8
	v_cndmask_b32_e32 v4, v6, v4, vcc
	v_lshrrev_b32_e32 v6, 16, v7
	v_and_or_b32 v4, v6, s11, v4
	v_mul_f64 v[6:7], v[9:10], s[2:3]
	v_and_b32_e32 v2, 0xffff, v2
	v_lshl_or_b32 v2, v4, 16, v2
	v_mov_b32_e32 v4, s4
	v_add_co_u32_e32 v9, vcc, s5, v11
	v_addc_co_u32_e32 v10, vcc, v12, v4, vcc
	global_store_dword v[9:10], v2, off
	v_and_or_b32 v2, v7, s6, v6
	v_cmp_ne_u32_e32 vcc, 0, v2
	v_cndmask_b32_e64 v2, 0, 1, vcc
	v_lshrrev_b32_e32 v4, 8, v7
	v_bfe_u32 v6, v7, 20, 11
	v_and_or_b32 v2, v4, s7, v2
	v_sub_u32_e32 v11, 0x3f1, v6
	v_or_b32_e32 v4, 0x1000, v2
	v_med3_i32 v11, v11, 0, 13
	v_lshrrev_b32_e32 v12, v11, v4
	v_lshlrev_b32_e32 v11, v11, v12
	v_mul_f16_sdwa v0, v63, v0 dst_sel:DWORD dst_unused:UNUSED_PAD src0_sel:WORD_1 src1_sel:DWORD
	v_cmp_ne_u32_e32 vcc, v11, v4
	v_fma_f16 v0, v63, v13, -v0
	v_cndmask_b32_e64 v4, 0, 1, vcc
	v_add_u32_e32 v6, 0xfffffc10, v6
	v_cvt_f32_f16_e32 v0, v0
	v_or_b32_e32 v4, v12, v4
	v_lshl_or_b32 v11, v6, 12, v2
	v_cmp_gt_i32_e32 vcc, 1, v6
	v_cndmask_b32_e32 v4, v11, v4, vcc
	v_and_b32_e32 v11, 7, v4
	v_cmp_lt_i32_e32 vcc, 5, v11
	v_cmp_eq_u32_e64 s[0:1], 3, v11
	v_cvt_f64_f32_e32 v[11:12], v0
	v_lshrrev_b32_e32 v4, 2, v4
	s_or_b64 vcc, s[0:1], vcc
	v_addc_co_u32_e32 v0, vcc, 0, v4, vcc
	v_mul_f64 v[11:12], v[11:12], s[2:3]
	v_cmp_gt_i32_e32 vcc, 31, v6
	v_cndmask_b32_e32 v0, v8, v0, vcc
	v_cmp_ne_u32_e32 vcc, 0, v2
	v_cndmask_b32_e64 v2, 0, 1, vcc
	v_lshl_or_b32 v2, v2, 9, v8
	v_cmp_eq_u32_e32 vcc, s10, v6
	v_cndmask_b32_e32 v0, v0, v2, vcc
	v_lshrrev_b32_e32 v2, 16, v7
	v_and_or_b32 v0, v2, s11, v0
	v_and_or_b32 v2, v12, s6, v11
	v_cmp_ne_u32_e32 vcc, 0, v2
	v_cndmask_b32_e64 v2, 0, 1, vcc
	v_lshrrev_b32_e32 v4, 8, v12
	v_bfe_u32 v6, v12, 20, 11
	v_and_or_b32 v2, v4, s7, v2
	v_sub_u32_e32 v7, 0x3f1, v6
	v_or_b32_e32 v4, 0x1000, v2
	v_med3_i32 v7, v7, 0, 13
	v_lshrrev_b32_e32 v11, v7, v4
	v_lshlrev_b32_e32 v7, v7, v11
	v_cmp_ne_u32_e32 vcc, v7, v4
	v_cndmask_b32_e64 v4, 0, 1, vcc
	v_or_b32_e32 v4, v11, v4
	v_add_u32_e32 v11, 0xfffffc10, v6
	v_lshl_or_b32 v6, v11, 12, v2
	v_cmp_gt_i32_e32 vcc, 1, v11
	v_cndmask_b32_e32 v4, v6, v4, vcc
	v_and_b32_e32 v6, 7, v4
	v_lshrrev_b32_e32 v13, 16, v3
	v_cmp_lt_i32_e32 vcc, 5, v6
	v_cmp_eq_u32_e64 s[0:1], 3, v6
	v_mul_f16_sdwa v6, v62, v13 dst_sel:DWORD dst_unused:UNUSED_PAD src0_sel:WORD_1 src1_sel:DWORD
	v_fma_f16 v6, v62, v3, v6
	v_cvt_f32_f16_e32 v6, v6
	v_lshrrev_b32_e32 v4, 2, v4
	s_or_b64 vcc, s[0:1], vcc
	v_addc_co_u32_e32 v4, vcc, 0, v4, vcc
	v_cvt_f64_f32_e32 v[6:7], v6
	v_cmp_gt_i32_e32 vcc, 31, v11
	v_cndmask_b32_e32 v4, v8, v4, vcc
	v_cmp_ne_u32_e32 vcc, 0, v2
	v_mul_f64 v[6:7], v[6:7], s[2:3]
	v_cndmask_b32_e64 v2, 0, 1, vcc
	v_mad_u64_u32 v[9:10], s[0:1], s8, v60, v[9:10]
	v_lshl_or_b32 v2, v2, 9, v8
	v_cmp_eq_u32_e32 vcc, s10, v11
	v_cndmask_b32_e32 v2, v4, v2, vcc
	v_lshrrev_b32_e32 v4, 16, v12
	v_and_or_b32 v2, v4, s11, v2
	v_and_b32_e32 v0, 0xffff, v0
	v_lshl_or_b32 v0, v2, 16, v0
	v_add_u32_e32 v10, s9, v10
	global_store_dword v[9:10], v0, off
	v_and_or_b32 v0, v7, s6, v6
	v_cmp_ne_u32_e32 vcc, 0, v0
	v_cndmask_b32_e64 v0, 0, 1, vcc
	v_lshrrev_b32_e32 v2, 8, v7
	v_bfe_u32 v4, v7, 20, 11
	v_and_or_b32 v0, v2, s7, v0
	v_sub_u32_e32 v6, 0x3f1, v4
	v_or_b32_e32 v2, 0x1000, v0
	v_med3_i32 v6, v6, 0, 13
	v_lshrrev_b32_e32 v11, v6, v2
	v_lshlrev_b32_e32 v6, v6, v11
	v_mul_f16_sdwa v3, v62, v3 dst_sel:DWORD dst_unused:UNUSED_PAD src0_sel:WORD_1 src1_sel:DWORD
	v_cmp_ne_u32_e32 vcc, v6, v2
	v_fma_f16 v3, v62, v13, -v3
	v_cndmask_b32_e64 v2, 0, 1, vcc
	v_add_u32_e32 v4, 0xfffffc10, v4
	v_cvt_f32_f16_e32 v3, v3
	v_or_b32_e32 v2, v11, v2
	v_lshl_or_b32 v6, v4, 12, v0
	v_cmp_gt_i32_e32 vcc, 1, v4
	v_cndmask_b32_e32 v2, v6, v2, vcc
	v_and_b32_e32 v6, 7, v2
	v_cmp_lt_i32_e32 vcc, 5, v6
	v_cmp_eq_u32_e64 s[0:1], 3, v6
	v_lshrrev_b32_e32 v6, 2, v2
	v_cvt_f64_f32_e32 v[2:3], v3
	s_or_b64 vcc, s[0:1], vcc
	v_addc_co_u32_e32 v6, vcc, 0, v6, vcc
	v_mul_f64 v[2:3], v[2:3], s[2:3]
	v_cmp_gt_i32_e32 vcc, 31, v4
	v_cndmask_b32_e32 v6, v8, v6, vcc
	v_cmp_ne_u32_e32 vcc, 0, v0
	v_cndmask_b32_e64 v0, 0, 1, vcc
	v_lshl_or_b32 v0, v0, 9, v8
	v_cmp_eq_u32_e32 vcc, s10, v4
	v_cndmask_b32_e32 v0, v6, v0, vcc
	v_and_or_b32 v2, v3, s6, v2
	v_lshrrev_b32_e32 v4, 16, v7
	v_cmp_ne_u32_e32 vcc, 0, v2
	v_and_or_b32 v0, v4, s11, v0
	v_cndmask_b32_e64 v2, 0, 1, vcc
	v_lshrrev_b32_e32 v4, 8, v3
	v_bfe_u32 v6, v3, 20, 11
	v_and_or_b32 v2, v4, s7, v2
	v_sub_u32_e32 v7, 0x3f1, v6
	v_or_b32_e32 v4, 0x1000, v2
	v_med3_i32 v7, v7, 0, 13
	v_lshrrev_b32_e32 v11, v7, v4
	v_lshlrev_b32_e32 v7, v7, v11
	v_cmp_ne_u32_e32 vcc, v7, v4
	v_cndmask_b32_e64 v4, 0, 1, vcc
	v_add_u32_e32 v6, 0xfffffc10, v6
	v_or_b32_e32 v4, v11, v4
	v_lshl_or_b32 v7, v6, 12, v2
	v_cmp_gt_i32_e32 vcc, 1, v6
	v_cndmask_b32_e32 v4, v7, v4, vcc
	v_and_b32_e32 v7, 7, v4
	v_lshrrev_b32_e32 v11, 16, v1
	v_cmp_lt_i32_e32 vcc, 5, v7
	v_cmp_eq_u32_e64 s[0:1], 3, v7
	v_mul_f16_sdwa v7, v61, v11 dst_sel:DWORD dst_unused:UNUSED_PAD src0_sel:WORD_1 src1_sel:DWORD
	v_fma_f16 v7, v61, v1, v7
	v_lshrrev_b32_e32 v4, 2, v4
	s_or_b64 vcc, s[0:1], vcc
	v_cvt_f32_f16_e32 v7, v7
	v_addc_co_u32_e32 v4, vcc, 0, v4, vcc
	v_cmp_gt_i32_e32 vcc, 31, v6
	v_cndmask_b32_e32 v4, v8, v4, vcc
	v_cmp_ne_u32_e32 vcc, 0, v2
	v_cndmask_b32_e64 v2, 0, 1, vcc
	v_cmp_eq_u32_e32 vcc, s10, v6
	v_cvt_f64_f32_e32 v[6:7], v7
	v_lshl_or_b32 v2, v2, 9, v8
	v_cndmask_b32_e32 v2, v4, v2, vcc
	v_lshrrev_b32_e32 v3, 16, v3
	v_and_or_b32 v4, v3, s11, v2
	v_mul_f64 v[2:3], v[6:7], s[2:3]
	v_and_b32_e32 v0, 0xffff, v0
	v_lshl_or_b32 v0, v4, 16, v0
	v_mov_b32_e32 v4, s4
	v_add_co_u32_e32 v6, vcc, s5, v9
	v_addc_co_u32_e32 v7, vcc, v10, v4, vcc
	global_store_dword v[6:7], v0, off
	v_and_or_b32 v0, v3, s6, v2
	v_cmp_ne_u32_e32 vcc, 0, v0
	v_cndmask_b32_e64 v0, 0, 1, vcc
	v_lshrrev_b32_e32 v2, 8, v3
	v_bfe_u32 v4, v3, 20, 11
	v_and_or_b32 v2, v2, s7, v0
	v_sub_u32_e32 v9, 0x3f1, v4
	v_or_b32_e32 v0, 0x1000, v2
	v_med3_i32 v9, v9, 0, 13
	v_lshrrev_b32_e32 v10, v9, v0
	v_lshlrev_b32_e32 v9, v9, v10
	v_mul_f16_sdwa v1, v61, v1 dst_sel:DWORD dst_unused:UNUSED_PAD src0_sel:WORD_1 src1_sel:DWORD
	v_cmp_ne_u32_e32 vcc, v9, v0
	v_fma_f16 v1, v61, v11, -v1
	v_cndmask_b32_e64 v0, 0, 1, vcc
	v_add_u32_e32 v4, 0xfffffc10, v4
	v_cvt_f32_f16_e32 v1, v1
	v_or_b32_e32 v0, v10, v0
	v_lshl_or_b32 v9, v4, 12, v2
	v_cmp_gt_i32_e32 vcc, 1, v4
	v_cndmask_b32_e32 v0, v9, v0, vcc
	v_and_b32_e32 v9, 7, v0
	v_cmp_lt_i32_e32 vcc, 5, v9
	v_cmp_eq_u32_e64 s[0:1], 3, v9
	v_lshrrev_b32_e32 v9, 2, v0
	v_cvt_f64_f32_e32 v[0:1], v1
	s_or_b64 vcc, s[0:1], vcc
	v_addc_co_u32_e32 v9, vcc, 0, v9, vcc
	v_mul_f64 v[0:1], v[0:1], s[2:3]
	v_cmp_gt_i32_e32 vcc, 31, v4
	v_cndmask_b32_e32 v9, v8, v9, vcc
	v_cmp_ne_u32_e32 vcc, 0, v2
	v_cndmask_b32_e64 v2, 0, 1, vcc
	v_lshl_or_b32 v2, v2, 9, v8
	v_cmp_eq_u32_e32 vcc, s10, v4
	v_cndmask_b32_e32 v2, v9, v2, vcc
	v_and_or_b32 v0, v1, s6, v0
	v_lshrrev_b32_e32 v3, 16, v3
	v_cmp_ne_u32_e32 vcc, 0, v0
	v_and_or_b32 v4, v3, s11, v2
	v_cndmask_b32_e64 v0, 0, 1, vcc
	v_lshrrev_b32_e32 v2, 8, v1
	v_bfe_u32 v3, v1, 20, 11
	v_and_or_b32 v0, v2, s7, v0
	v_sub_u32_e32 v9, 0x3f1, v3
	v_or_b32_e32 v2, 0x1000, v0
	v_med3_i32 v9, v9, 0, 13
	v_lshrrev_b32_e32 v10, v9, v2
	v_lshlrev_b32_e32 v9, v9, v10
	v_cmp_ne_u32_e32 vcc, v9, v2
	v_cndmask_b32_e64 v2, 0, 1, vcc
	v_add_u32_e32 v3, 0xfffffc10, v3
	v_or_b32_e32 v2, v10, v2
	v_lshl_or_b32 v9, v3, 12, v0
	v_cmp_gt_i32_e32 vcc, 1, v3
	v_cndmask_b32_e32 v2, v9, v2, vcc
	v_and_b32_e32 v9, 7, v2
	v_cmp_lt_i32_e32 vcc, 5, v9
	v_cmp_eq_u32_e64 s[0:1], 3, v9
	v_lshrrev_b32_e32 v9, 16, v5
	v_lshrrev_b32_e32 v2, 2, v2
	s_or_b64 vcc, s[0:1], vcc
	v_mul_f16_sdwa v10, v59, v9 dst_sel:DWORD dst_unused:UNUSED_PAD src0_sel:WORD_1 src1_sel:DWORD
	v_addc_co_u32_e32 v2, vcc, 0, v2, vcc
	v_fma_f16 v10, v59, v5, v10
	v_cmp_gt_i32_e32 vcc, 31, v3
	v_cvt_f32_f16_e32 v10, v10
	v_cndmask_b32_e32 v2, v8, v2, vcc
	v_cmp_ne_u32_e32 vcc, 0, v0
	v_cndmask_b32_e64 v0, 0, 1, vcc
	v_lshl_or_b32 v0, v0, 9, v8
	v_cmp_eq_u32_e32 vcc, s10, v3
	v_cndmask_b32_e32 v0, v2, v0, vcc
	v_cvt_f64_f32_e32 v[2:3], v10
	v_lshrrev_b32_e32 v1, 16, v1
	v_and_or_b32 v10, v1, s11, v0
	v_and_b32_e32 v4, 0xffff, v4
	v_mul_f64 v[0:1], v[2:3], s[2:3]
	v_mov_b32_e32 v3, s4
	v_add_co_u32_e32 v2, vcc, s5, v6
	v_addc_co_u32_e32 v3, vcc, v7, v3, vcc
	v_lshl_or_b32 v4, v10, 16, v4
	global_store_dword v[2:3], v4, off
	v_and_or_b32 v0, v1, s6, v0
	v_cmp_ne_u32_e32 vcc, 0, v0
	v_cndmask_b32_e64 v0, 0, 1, vcc
	v_lshrrev_b32_e32 v4, 8, v1
	v_bfe_u32 v6, v1, 20, 11
	v_and_or_b32 v0, v4, s7, v0
	v_sub_u32_e32 v7, 0x3f1, v6
	v_or_b32_e32 v4, 0x1000, v0
	v_med3_i32 v7, v7, 0, 13
	v_lshrrev_b32_e32 v10, v7, v4
	v_lshlrev_b32_e32 v7, v7, v10
	v_mul_f16_sdwa v5, v59, v5 dst_sel:DWORD dst_unused:UNUSED_PAD src0_sel:WORD_1 src1_sel:DWORD
	v_cmp_ne_u32_e32 vcc, v7, v4
	v_fma_f16 v5, v59, v9, -v5
	v_cndmask_b32_e64 v4, 0, 1, vcc
	v_add_u32_e32 v6, 0xfffffc10, v6
	v_cvt_f32_f16_e32 v5, v5
	v_or_b32_e32 v4, v10, v4
	v_lshl_or_b32 v7, v6, 12, v0
	v_cmp_gt_i32_e32 vcc, 1, v6
	v_cndmask_b32_e32 v4, v7, v4, vcc
	v_and_b32_e32 v7, 7, v4
	v_cmp_lt_i32_e32 vcc, 5, v7
	v_cmp_eq_u32_e64 s[0:1], 3, v7
	v_lshrrev_b32_e32 v7, 2, v4
	v_cvt_f64_f32_e32 v[4:5], v5
	s_or_b64 vcc, s[0:1], vcc
	v_addc_co_u32_e32 v7, vcc, 0, v7, vcc
	v_mul_f64 v[4:5], v[4:5], s[2:3]
	v_cmp_gt_i32_e32 vcc, 31, v6
	v_cndmask_b32_e32 v7, v8, v7, vcc
	v_cmp_ne_u32_e32 vcc, 0, v0
	v_cndmask_b32_e64 v0, 0, 1, vcc
	v_lshl_or_b32 v0, v0, 9, v8
	v_cmp_eq_u32_e32 vcc, s10, v6
	v_cndmask_b32_e32 v0, v7, v0, vcc
	v_lshrrev_b32_e32 v1, 16, v1
	v_and_or_b32 v6, v1, s11, v0
	v_and_or_b32 v0, v5, s6, v4
	v_cmp_ne_u32_e32 vcc, 0, v0
	v_cndmask_b32_e64 v0, 0, 1, vcc
	v_lshrrev_b32_e32 v1, 8, v5
	v_bfe_u32 v4, v5, 20, 11
	v_and_or_b32 v0, v1, s7, v0
	v_sub_u32_e32 v7, 0x3f1, v4
	v_or_b32_e32 v1, 0x1000, v0
	v_med3_i32 v7, v7, 0, 13
	v_lshrrev_b32_e32 v9, v7, v1
	v_lshlrev_b32_e32 v7, v7, v9
	v_cmp_ne_u32_e32 vcc, v7, v1
	v_cndmask_b32_e64 v1, 0, 1, vcc
	v_add_u32_e32 v4, 0xfffffc10, v4
	v_or_b32_e32 v1, v9, v1
	v_lshl_or_b32 v7, v4, 12, v0
	v_cmp_gt_i32_e32 vcc, 1, v4
	v_cndmask_b32_e32 v1, v7, v1, vcc
	v_and_b32_e32 v7, 7, v1
	v_cmp_lt_i32_e32 vcc, 5, v7
	v_cmp_eq_u32_e64 s[0:1], 3, v7
	ds_read_b32 v7, v57 offset:12600
	v_lshrrev_b32_e32 v1, 2, v1
	s_or_b64 vcc, s[0:1], vcc
	v_addc_co_u32_e32 v1, vcc, 0, v1, vcc
	s_waitcnt lgkmcnt(0)
	v_lshrrev_b32_e32 v9, 16, v7
	v_mul_f16_sdwa v10, v58, v9 dst_sel:DWORD dst_unused:UNUSED_PAD src0_sel:WORD_1 src1_sel:DWORD
	v_fma_f16 v10, v58, v7, v10
	v_cmp_gt_i32_e32 vcc, 31, v4
	v_cvt_f32_f16_e32 v10, v10
	v_cndmask_b32_e32 v1, v8, v1, vcc
	v_cmp_ne_u32_e32 vcc, 0, v0
	v_cndmask_b32_e64 v0, 0, 1, vcc
	v_lshl_or_b32 v0, v0, 9, v8
	v_cmp_eq_u32_e32 vcc, s10, v4
	v_cndmask_b32_e32 v4, v1, v0, vcc
	v_cvt_f64_f32_e32 v[0:1], v10
	v_lshrrev_b32_e32 v5, 16, v5
	v_and_or_b32 v4, v5, s11, v4
	v_and_b32_e32 v5, 0xffff, v6
	v_mul_f64 v[0:1], v[0:1], s[2:3]
	v_lshl_or_b32 v4, v4, 16, v5
	v_mov_b32_e32 v5, s4
	v_add_co_u32_e32 v2, vcc, s5, v2
	v_addc_co_u32_e32 v3, vcc, v3, v5, vcc
	global_store_dword v[2:3], v4, off
	v_and_or_b32 v0, v1, s6, v0
	v_cmp_ne_u32_e32 vcc, 0, v0
	v_cndmask_b32_e64 v0, 0, 1, vcc
	v_lshrrev_b32_e32 v4, 8, v1
	v_bfe_u32 v5, v1, 20, 11
	v_and_or_b32 v0, v4, s7, v0
	v_sub_u32_e32 v6, 0x3f1, v5
	v_or_b32_e32 v4, 0x1000, v0
	v_med3_i32 v6, v6, 0, 13
	v_lshrrev_b32_e32 v10, v6, v4
	v_lshlrev_b32_e32 v6, v6, v10
	v_mul_f16_sdwa v7, v58, v7 dst_sel:DWORD dst_unused:UNUSED_PAD src0_sel:WORD_1 src1_sel:DWORD
	v_cmp_ne_u32_e32 vcc, v6, v4
	v_fma_f16 v7, v58, v9, -v7
	v_cndmask_b32_e64 v4, 0, 1, vcc
	v_add_u32_e32 v6, 0xfffffc10, v5
	v_cvt_f32_f16_e32 v7, v7
	v_or_b32_e32 v4, v10, v4
	v_lshl_or_b32 v5, v6, 12, v0
	v_cmp_gt_i32_e32 vcc, 1, v6
	v_cndmask_b32_e32 v4, v5, v4, vcc
	v_and_b32_e32 v5, 7, v4
	v_cmp_lt_i32_e32 vcc, 5, v5
	v_cmp_eq_u32_e64 s[0:1], 3, v5
	v_lshrrev_b32_e32 v9, 2, v4
	v_cvt_f64_f32_e32 v[4:5], v7
	s_or_b64 vcc, s[0:1], vcc
	v_addc_co_u32_e32 v7, vcc, 0, v9, vcc
	v_mul_f64 v[4:5], v[4:5], s[2:3]
	v_cmp_gt_i32_e32 vcc, 31, v6
	v_cndmask_b32_e32 v7, v8, v7, vcc
	v_cmp_ne_u32_e32 vcc, 0, v0
	v_cndmask_b32_e64 v0, 0, 1, vcc
	v_lshl_or_b32 v0, v0, 9, v8
	v_cmp_eq_u32_e32 vcc, s10, v6
	v_cndmask_b32_e32 v0, v7, v0, vcc
	v_lshrrev_b32_e32 v1, 16, v1
	v_and_or_b32 v0, v1, s11, v0
	v_and_or_b32 v1, v5, s6, v4
	v_cmp_ne_u32_e32 vcc, 0, v1
	v_cndmask_b32_e64 v1, 0, 1, vcc
	v_lshrrev_b32_e32 v4, 8, v5
	v_bfe_u32 v6, v5, 20, 11
	v_and_or_b32 v1, v4, s7, v1
	v_sub_u32_e32 v7, 0x3f1, v6
	v_or_b32_e32 v4, 0x1000, v1
	v_med3_i32 v7, v7, 0, 13
	v_lshrrev_b32_e32 v9, v7, v4
	v_lshlrev_b32_e32 v7, v7, v9
	v_cmp_ne_u32_e32 vcc, v7, v4
	v_cndmask_b32_e64 v4, 0, 1, vcc
	v_add_u32_e32 v6, 0xfffffc10, v6
	v_or_b32_e32 v4, v9, v4
	v_lshl_or_b32 v7, v6, 12, v1
	v_cmp_gt_i32_e32 vcc, 1, v6
	v_cndmask_b32_e32 v4, v7, v4, vcc
	v_and_b32_e32 v7, 7, v4
	v_cmp_lt_i32_e32 vcc, 5, v7
	v_cmp_eq_u32_e64 s[0:1], 3, v7
	v_lshrrev_b32_e32 v4, 2, v4
	s_or_b64 vcc, s[0:1], vcc
	v_addc_co_u32_e32 v4, vcc, 0, v4, vcc
	v_cmp_gt_i32_e32 vcc, 31, v6
	v_cndmask_b32_e32 v4, v8, v4, vcc
	v_cmp_ne_u32_e32 vcc, 0, v1
	v_cndmask_b32_e64 v1, 0, 1, vcc
	v_lshl_or_b32 v1, v1, 9, v8
	v_cmp_eq_u32_e32 vcc, s10, v6
	v_cndmask_b32_e32 v1, v4, v1, vcc
	v_lshrrev_b32_e32 v4, 16, v5
	v_and_or_b32 v1, v4, s11, v1
	v_and_b32_e32 v0, 0xffff, v0
	v_lshl_or_b32 v4, v1, 16, v0
	v_mov_b32_e32 v1, s4
	v_add_co_u32_e32 v0, vcc, s5, v2
	v_addc_co_u32_e32 v1, vcc, v3, v1, vcc
	global_store_dword v[0:1], v4, off
.LBB0_2:
	s_endpgm
	.section	.rodata,"a",@progbits
	.p2align	6, 0x0
	.amdhsa_kernel bluestein_single_fwd_len3375_dim1_half_op_CI_CI
		.amdhsa_group_segment_fixed_size 13500
		.amdhsa_private_segment_fixed_size 0
		.amdhsa_kernarg_size 104
		.amdhsa_user_sgpr_count 6
		.amdhsa_user_sgpr_private_segment_buffer 1
		.amdhsa_user_sgpr_dispatch_ptr 0
		.amdhsa_user_sgpr_queue_ptr 0
		.amdhsa_user_sgpr_kernarg_segment_ptr 1
		.amdhsa_user_sgpr_dispatch_id 0
		.amdhsa_user_sgpr_flat_scratch_init 0
		.amdhsa_user_sgpr_private_segment_size 0
		.amdhsa_uses_dynamic_stack 0
		.amdhsa_system_sgpr_private_segment_wavefront_offset 0
		.amdhsa_system_sgpr_workgroup_id_x 1
		.amdhsa_system_sgpr_workgroup_id_y 0
		.amdhsa_system_sgpr_workgroup_id_z 0
		.amdhsa_system_sgpr_workgroup_info 0
		.amdhsa_system_vgpr_workitem_id 0
		.amdhsa_next_free_vgpr 132
		.amdhsa_next_free_sgpr 21
		.amdhsa_reserve_vcc 1
		.amdhsa_reserve_flat_scratch 0
		.amdhsa_float_round_mode_32 0
		.amdhsa_float_round_mode_16_64 0
		.amdhsa_float_denorm_mode_32 3
		.amdhsa_float_denorm_mode_16_64 3
		.amdhsa_dx10_clamp 1
		.amdhsa_ieee_mode 1
		.amdhsa_fp16_overflow 0
		.amdhsa_exception_fp_ieee_invalid_op 0
		.amdhsa_exception_fp_denorm_src 0
		.amdhsa_exception_fp_ieee_div_zero 0
		.amdhsa_exception_fp_ieee_overflow 0
		.amdhsa_exception_fp_ieee_underflow 0
		.amdhsa_exception_fp_ieee_inexact 0
		.amdhsa_exception_int_div_zero 0
	.end_amdhsa_kernel
	.text
.Lfunc_end0:
	.size	bluestein_single_fwd_len3375_dim1_half_op_CI_CI, .Lfunc_end0-bluestein_single_fwd_len3375_dim1_half_op_CI_CI
                                        ; -- End function
	.section	.AMDGPU.csdata,"",@progbits
; Kernel info:
; codeLenInByte = 27052
; NumSgprs: 25
; NumVgprs: 132
; ScratchSize: 0
; MemoryBound: 0
; FloatMode: 240
; IeeeMode: 1
; LDSByteSize: 13500 bytes/workgroup (compile time only)
; SGPRBlocks: 3
; VGPRBlocks: 32
; NumSGPRsForWavesPerEU: 25
; NumVGPRsForWavesPerEU: 132
; Occupancy: 1
; WaveLimiterHint : 1
; COMPUTE_PGM_RSRC2:SCRATCH_EN: 0
; COMPUTE_PGM_RSRC2:USER_SGPR: 6
; COMPUTE_PGM_RSRC2:TRAP_HANDLER: 0
; COMPUTE_PGM_RSRC2:TGID_X_EN: 1
; COMPUTE_PGM_RSRC2:TGID_Y_EN: 0
; COMPUTE_PGM_RSRC2:TGID_Z_EN: 0
; COMPUTE_PGM_RSRC2:TIDIG_COMP_CNT: 0
	.type	__hip_cuid_f1958365347df397,@object ; @__hip_cuid_f1958365347df397
	.section	.bss,"aw",@nobits
	.globl	__hip_cuid_f1958365347df397
__hip_cuid_f1958365347df397:
	.byte	0                               ; 0x0
	.size	__hip_cuid_f1958365347df397, 1

	.ident	"AMD clang version 19.0.0git (https://github.com/RadeonOpenCompute/llvm-project roc-6.4.0 25133 c7fe45cf4b819c5991fe208aaa96edf142730f1d)"
	.section	".note.GNU-stack","",@progbits
	.addrsig
	.addrsig_sym __hip_cuid_f1958365347df397
	.amdgpu_metadata
---
amdhsa.kernels:
  - .args:
      - .actual_access:  read_only
        .address_space:  global
        .offset:         0
        .size:           8
        .value_kind:     global_buffer
      - .actual_access:  read_only
        .address_space:  global
        .offset:         8
        .size:           8
        .value_kind:     global_buffer
      - .actual_access:  read_only
        .address_space:  global
        .offset:         16
        .size:           8
        .value_kind:     global_buffer
      - .actual_access:  read_only
        .address_space:  global
        .offset:         24
        .size:           8
        .value_kind:     global_buffer
      - .actual_access:  read_only
        .address_space:  global
        .offset:         32
        .size:           8
        .value_kind:     global_buffer
      - .offset:         40
        .size:           8
        .value_kind:     by_value
      - .address_space:  global
        .offset:         48
        .size:           8
        .value_kind:     global_buffer
      - .address_space:  global
        .offset:         56
        .size:           8
        .value_kind:     global_buffer
      - .address_space:  global
        .offset:         64
        .size:           8
        .value_kind:     global_buffer
      - .address_space:  global
        .offset:         72
        .size:           8
        .value_kind:     global_buffer
      - .offset:         80
        .size:           4
        .value_kind:     by_value
      - .address_space:  global
        .offset:         88
        .size:           8
        .value_kind:     global_buffer
      - .address_space:  global
        .offset:         96
        .size:           8
        .value_kind:     global_buffer
    .group_segment_fixed_size: 13500
    .kernarg_segment_align: 8
    .kernarg_segment_size: 104
    .language:       OpenCL C
    .language_version:
      - 2
      - 0
    .max_flat_workgroup_size: 225
    .name:           bluestein_single_fwd_len3375_dim1_half_op_CI_CI
    .private_segment_fixed_size: 0
    .sgpr_count:     25
    .sgpr_spill_count: 0
    .symbol:         bluestein_single_fwd_len3375_dim1_half_op_CI_CI.kd
    .uniform_work_group_size: 1
    .uses_dynamic_stack: false
    .vgpr_count:     132
    .vgpr_spill_count: 0
    .wavefront_size: 64
amdhsa.target:   amdgcn-amd-amdhsa--gfx906
amdhsa.version:
  - 1
  - 2
...

	.end_amdgpu_metadata
